;; amdgpu-corpus repo=triton-lang/triton kind=triton arch=gfx1100 opt=O3 lang=triton
	.amdgcn_target "amdgcn-amd-amdhsa--gfx1100"
	.amdhsa_code_object_version 5
	.text
	.globl	matmul_kernel                   ; -- Begin function matmul_kernel
	.p2align	8
	.type	matmul_kernel,@function
matmul_kernel:                          ; @matmul_kernel
.Lfunc_begin0:
	.file	1 "/root/src/amdgpu-assembly/repos/triton-lang__triton-aot" "matmul.py"
	.loc	1 7 0                           ; matmul.py:7:0
	.cfi_sections .debug_frame
	.cfi_startproc
; %bb.0:
	s_clause 0x1
	s_load_b128 s[20:23], s[0:1], 0x18
	s_load_b64 s[12:13], s[0:1], 0x0
	v_mov_b32_e32 v9, 0
	v_mov_b32_e32 v11, 0
.Ltmp0:
	.file	2 "/root/.local/lib/python3.13/site-packages/triton/language" "standard.py"
	.loc	2 43 17 prologue_end            ; standard.py:43:17 @[ matmul.py:14:27 ]
	s_waitcnt lgkmcnt(0)
	s_add_i32 s2, s21, 63
.Ltmp1:
	.loc	2 43 17 is_stmt 0               ; standard.py:43:17 @[ matmul.py:29:33 ]
	s_add_i32 s25, s22, 31
.Ltmp2:
	.loc	2 43 30                         ; standard.py:43:30 @[ matmul.py:14:27 ]
	s_ashr_i32 s3, s2, 31
	s_delay_alu instid0(SALU_CYCLE_1) | instskip(NEXT) | instid1(SALU_CYCLE_1)
	s_lshr_b32 s3, s3, 26
	s_add_i32 s2, s2, s3
	s_delay_alu instid0(SALU_CYCLE_1) | instskip(NEXT) | instid1(SALU_CYCLE_1)
	s_ashr_i32 s2, s2, 6
.Ltmp3:
	.loc	1 15 38 is_stmt 1               ; matmul.py:15:38
	s_lshl_b32 s2, s2, 2
	s_delay_alu instid0(SALU_CYCLE_1) | instskip(NEXT) | instid1(SALU_CYCLE_1)
	.loc	1 16 22                         ; matmul.py:16:22
	s_abs_i32 s3, s2
	v_cvt_f32_u32_e32 v1, s3
	s_sub_i32 s4, 0, s3
	s_delay_alu instid0(VALU_DEP_1) | instskip(SKIP_2) | instid1(VALU_DEP_1)
	v_rcp_iflag_f32_e32 v1, v1
	s_waitcnt_depctr depctr_va_vdst(0)
	v_mul_f32_e32 v1, 0x4f7ffffe, v1
	v_cvt_u32_f32_e32 v1, v1
	s_delay_alu instid0(VALU_DEP_1) | instskip(SKIP_1) | instid1(VALU_DEP_1)
	v_mul_lo_u32 v2, s4, v1
	s_abs_i32 s4, s15
	v_mul_hi_u32 v2, v1, v2
	s_delay_alu instid0(VALU_DEP_1) | instskip(NEXT) | instid1(VALU_DEP_1)
	v_add_nc_u32_e32 v1, v1, v2
	v_mul_hi_u32 v1, s4, v1
	s_delay_alu instid0(VALU_DEP_1) | instskip(SKIP_1) | instid1(VALU_DEP_2)
	v_mul_lo_u32 v2, v1, s3
	v_add_nc_u32_e32 v3, 1, v1
	v_sub_nc_u32_e32 v2, s4, v2
.Ltmp4:
	.loc	2 43 17                         ; standard.py:43:17 @[ matmul.py:13:27 ]
	s_add_i32 s4, s20, 0x7f
	s_delay_alu instid0(VALU_DEP_1) | instskip(SKIP_1) | instid1(VALU_DEP_2)
.Ltmp5:
	.loc	1 16 22                         ; matmul.py:16:22
	v_subrev_nc_u32_e32 v4, s3, v2
	v_cmp_le_u32_e32 vcc_lo, s3, v2
	v_dual_cndmask_b32 v1, v1, v3 :: v_dual_cndmask_b32 v2, v2, v4
	s_delay_alu instid0(VALU_DEP_1) | instskip(NEXT) | instid1(VALU_DEP_2)
	v_add_nc_u32_e32 v3, 1, v1
	v_cmp_le_u32_e32 vcc_lo, s3, v2
	s_xor_b32 s3, s15, s2
	s_delay_alu instid0(SALU_CYCLE_1) | instskip(NEXT) | instid1(VALU_DEP_2)
	s_ashr_i32 s3, s3, 31
	v_cndmask_b32_e32 v1, v1, v3, vcc_lo
	s_delay_alu instid0(VALU_DEP_1) | instskip(NEXT) | instid1(VALU_DEP_1)
	v_xor_b32_e32 v1, s3, v1
	v_subrev_nc_u32_e32 v1, s3, v1
.Ltmp6:
	.loc	2 43 30                         ; standard.py:43:30 @[ matmul.py:13:27 ]
	s_ashr_i32 s3, s4, 31
	s_delay_alu instid0(SALU_CYCLE_1) | instskip(NEXT) | instid1(VALU_DEP_1)
	s_lshr_b32 s3, s3, 25
.Ltmp7:
	.loc	1 17 29                         ; matmul.py:17:29
	v_lshlrev_b32_e32 v2, 2, v1
.Ltmp8:
	.loc	2 43 30                         ; standard.py:43:30 @[ matmul.py:13:27 ]
	s_add_i32 s4, s4, s3
.Ltmp9:
	.loc	1 19 34                         ; matmul.py:19:34
	v_mul_lo_u32 v1, v1, s2
.Ltmp10:
	.loc	2 43 30                         ; standard.py:43:30 @[ matmul.py:13:27 ]
	s_ashr_i32 s3, s4, 7
.Ltmp11:
	.loc	1 22 68                         ; matmul.py:22:68
	s_abs_i32 s4, s20
	.loc	1 18 35                         ; matmul.py:18:35
	v_sub_nc_u32_e32 v3, s3, v2
	.loc	1 22 68                         ; matmul.py:22:68
	s_sub_i32 s2, 0, s4
	s_load_b32 s3, s[0:1], 0x28
	.loc	1 29 22                         ; matmul.py:29:22
	s_cmp_gt_i32 s25, 31
	s_delay_alu instid0(VALU_DEP_1) | instskip(SKIP_2) | instid1(VALU_DEP_2)
	.loc	1 18 48                         ; matmul.py:18:48
	v_min_i32_e32 v3, 4, v3
	.loc	1 19 34                         ; matmul.py:19:34
	v_sub_nc_u32_e32 v1, s15, v1
	.loc	1 29 22                         ; matmul.py:29:22
	s_cselect_b32 s24, -1, 0
	.loc	1 20 40                         ; matmul.py:20:40
	v_sub_nc_u32_e32 v4, 0, v3
	s_delay_alu instid0(VALU_DEP_2) | instskip(NEXT) | instid1(VALU_DEP_2)
	v_sub_nc_u32_e32 v7, 0, v1
	v_max_i32_e32 v4, v3, v4
	s_delay_alu instid0(VALU_DEP_2) | instskip(NEXT) | instid1(VALU_DEP_2)
	v_max_i32_e32 v7, v1, v7
	v_cvt_f32_u32_e32 v5, v4
	v_sub_nc_u32_e32 v6, 0, v4
	s_delay_alu instid0(VALU_DEP_2) | instskip(SKIP_2) | instid1(VALU_DEP_1)
	v_rcp_iflag_f32_e32 v5, v5
	s_waitcnt_depctr depctr_va_vdst(0)
	v_mul_f32_e32 v5, 0x4f7ffffe, v5
	v_cvt_u32_f32_e32 v5, v5
	s_delay_alu instid0(VALU_DEP_1) | instskip(NEXT) | instid1(VALU_DEP_1)
	v_mul_lo_u32 v6, v6, v5
	v_mul_hi_u32 v6, v5, v6
	s_delay_alu instid0(VALU_DEP_1) | instskip(NEXT) | instid1(VALU_DEP_1)
	v_add_nc_u32_e32 v5, v5, v6
	v_mul_hi_u32 v5, v7, v5
	s_delay_alu instid0(VALU_DEP_1) | instskip(NEXT) | instid1(VALU_DEP_1)
	v_mul_lo_u32 v6, v5, v4
	v_sub_nc_u32_e32 v6, v7, v6
	v_add_nc_u32_e32 v7, 1, v5
	s_delay_alu instid0(VALU_DEP_2) | instskip(SKIP_1) | instid1(VALU_DEP_2)
	v_sub_nc_u32_e32 v8, v6, v4
	v_cmp_ge_u32_e32 vcc_lo, v6, v4
	v_dual_cndmask_b32 v5, v5, v7 :: v_dual_cndmask_b32 v6, v6, v8
	v_xor_b32_e32 v7, v1, v3
	s_delay_alu instid0(VALU_DEP_2) | instskip(NEXT) | instid1(VALU_DEP_3)
	v_add_nc_u32_e32 v8, 1, v5
	v_cmp_ge_u32_e32 vcc_lo, v6, v4
	s_delay_alu instid0(VALU_DEP_3) | instskip(NEXT) | instid1(VALU_DEP_3)
	v_ashrrev_i32_e32 v7, 31, v7
	v_cndmask_b32_e32 v4, v5, v8, vcc_lo
	.loc	1 22 68                         ; matmul.py:22:68
	v_cvt_f32_u32_e32 v5, s4
	s_delay_alu instid0(VALU_DEP_2) | instskip(NEXT) | instid1(VALU_DEP_1)
	.loc	1 20 40                         ; matmul.py:20:40
	v_xor_b32_e32 v4, v4, v7
	v_sub_nc_u32_e32 v30, v4, v7
	s_delay_alu instid0(VALU_DEP_3) | instskip(NEXT) | instid1(VALU_DEP_1)
	.loc	1 22 68                         ; matmul.py:22:68
	v_rcp_iflag_f32_e32 v4, v5
	.loc	1 19 54                         ; matmul.py:19:54
	v_mul_lo_u32 v3, v30, v3
	.loc	1 22 68                         ; matmul.py:22:68
	s_waitcnt_depctr depctr_va_vdst(0)
	v_mul_f32_e32 v4, 0x4f7ffffe, v4
	.loc	1 19 54                         ; matmul.py:19:54
	v_sub_nc_u32_e32 v1, v1, v3
	s_delay_alu instid0(VALU_DEP_2) | instskip(SKIP_1) | instid1(VALU_DEP_3)
	.loc	1 22 68                         ; matmul.py:22:68
	v_cvt_u32_f32_e32 v3, v4
	.loc	1 22 51 is_stmt 0               ; matmul.py:22:51
	v_lshrrev_b32_e32 v4, 5, v0
	.loc	1 19 27 is_stmt 1               ; matmul.py:19:27
	v_add_nc_u32_e32 v1, v1, v2
	s_delay_alu instid0(VALU_DEP_3) | instskip(NEXT) | instid1(VALU_DEP_2)
	.loc	1 22 68                         ; matmul.py:22:68
	v_mul_lo_u32 v2, s2, v3
	.loc	1 22 23 is_stmt 0               ; matmul.py:22:23
	v_lshlrev_b32_e32 v5, 7, v1
	.loc	1 22 68                         ; matmul.py:22:68
	v_bfe_i32 v22, v1, 24, 1
	s_delay_alu instid0(VALU_DEP_2) | instskip(NEXT) | instid1(VALU_DEP_4)
	.loc	1 22 51                         ; matmul.py:22:51
	v_or_b32_e32 v1, v5, v4
	.loc	1 22 68                         ; matmul.py:22:68
	v_mul_hi_u32 v2, v3, v2
	s_delay_alu instid0(VALU_DEP_2) | instskip(NEXT) | instid1(VALU_DEP_2)
	v_add_nc_u32_e32 v31, v1, v22
	v_add_nc_u32_e32 v26, v3, v2
	s_delay_alu instid0(VALU_DEP_2) | instskip(SKIP_3) | instid1(VALU_DEP_4)
	v_xor_b32_e32 v1, v31, v22
	.loc	1 25 60 is_stmt 1               ; matmul.py:25:60
	v_and_b32_e32 v3, 31, v0
	.loc	1 22 68                         ; matmul.py:22:68
	v_add_nc_u32_e32 v4, 12, v31
	v_add_nc_u32_e32 v10, 20, v31
	v_mul_hi_u32 v2, v1, v26
	s_delay_alu instid0(VALU_DEP_3) | instskip(NEXT) | instid1(VALU_DEP_2)
	v_xor_b32_e32 v8, v4, v22
	v_mul_lo_u32 v2, v2, s4
	s_delay_alu instid0(VALU_DEP_1) | instskip(NEXT) | instid1(VALU_DEP_1)
	v_sub_nc_u32_e32 v1, v1, v2
	v_subrev_nc_u32_e32 v2, s4, v1
	v_cmp_le_u32_e32 vcc_lo, s4, v1
	s_delay_alu instid0(VALU_DEP_2) | instskip(NEXT) | instid1(VALU_DEP_1)
	v_cndmask_b32_e32 v1, v1, v2, vcc_lo
	v_subrev_nc_u32_e32 v2, s4, v1
	v_cmp_le_u32_e32 vcc_lo, s4, v1
	s_delay_alu instid0(VALU_DEP_2) | instskip(SKIP_1) | instid1(VALU_DEP_2)
	v_cndmask_b32_e32 v1, v1, v2, vcc_lo
	.loc	1 30 51                         ; matmul.py:30:51
	v_cmp_gt_i32_e32 vcc_lo, s22, v3
	.loc	1 22 68                         ; matmul.py:22:68
	v_xor_b32_e32 v2, v1, v22
	.loc	1 25 71                         ; matmul.py:25:71
	s_waitcnt lgkmcnt(0)
	v_mul_lo_u32 v1, s3, v3
	.loc	1 22 68                         ; matmul.py:22:68
	v_add_nc_u32_e32 v3, 8, v31
	s_delay_alu instid0(VALU_DEP_3) | instskip(NEXT) | instid1(VALU_DEP_1)
	v_sub_nc_u32_e32 v2, v2, v22
	.loc	1 25 53                         ; matmul.py:25:53
	v_mad_u64_u32 v[6:7], null, v2, s23, v[1:2]
	.loc	1 22 68                         ; matmul.py:22:68
	v_add_nc_u32_e32 v2, 4, v31
	s_delay_alu instid0(VALU_DEP_1) | instskip(NEXT) | instid1(VALU_DEP_3)
	v_xor_b32_e32 v13, v2, v22
	.loc	1 25 22                         ; matmul.py:25:22
	v_ashrrev_i32_e32 v7, 31, v6
	.loc	1 22 68                         ; matmul.py:22:68
	v_xor_b32_e32 v2, v3, v22
	s_delay_alu instid0(VALU_DEP_2) | instskip(SKIP_4) | instid1(VALU_DEP_3)
	.loc	1 25 22                         ; matmul.py:25:22
	v_lshlrev_b64 v[14:15], 1, v[6:7]
	scratch_store_b32 off, v5, off offset:240 ; 4-byte Folded Spill
	.loc	1 22 68                         ; matmul.py:22:68
	v_add_nc_u32_e32 v5, 16, v31
	v_mad_u64_u32 v[6:7], null, v2, v26, 0
	.loc	1 25 22                         ; matmul.py:25:22
	v_add_co_u32 v65, s2, s12, v14
	.loc	1 22 68                         ; matmul.py:22:68
	v_xor_b32_e32 v12, v5, v22
	v_mad_u64_u32 v[4:5], null, v13, v26, 0
	v_mad_u64_u32 v[3:4], null, v8, v26, 0
	.loc	1 25 22                         ; matmul.py:25:22
	v_add_co_ci_u32_e64 v66, null, s13, v15, s2
	.loc	1 29 22                         ; matmul.py:29:22
	s_and_b32 s2, vcc_lo, s24
	scratch_store_b64 off, v[14:15], off    ; 8-byte Folded Spill
	.loc	1 30 20                         ; matmul.py:30:20
	s_and_saveexec_b32 s5, s2
	s_cbranch_execz .LBB0_2
; %bb.1:
	global_load_u16 v11, v[65:66], off
.LBB0_2:
	.loc	1 0 20 is_stmt 0                ; matmul.py:0:20
	s_or_b32 exec_lo, exec_lo, s5
	.loc	1 22 68 is_stmt 1               ; matmul.py:22:68
	v_mul_lo_u32 v3, v5, s4
	.loc	1 0 0 is_stmt 0                 ; matmul.py:0
	v_xor_b32_e32 v14, v10, v22
	s_delay_alu instid0(VALU_DEP_2) | instskip(NEXT) | instid1(VALU_DEP_1)
	.loc	1 22 68                         ; matmul.py:22:68
	v_sub_nc_u32_e32 v3, v13, v3
	v_subrev_nc_u32_e32 v5, s4, v3
	v_cmp_le_u32_e32 vcc_lo, s4, v3
	s_delay_alu instid0(VALU_DEP_2) | instskip(NEXT) | instid1(VALU_DEP_1)
	v_cndmask_b32_e32 v3, v3, v5, vcc_lo
	v_subrev_nc_u32_e32 v5, s4, v3
	v_cmp_le_u32_e32 vcc_lo, s4, v3
	s_delay_alu instid0(VALU_DEP_2) | instskip(NEXT) | instid1(VALU_DEP_1)
	v_cndmask_b32_e32 v3, v3, v5, vcc_lo
	v_xor_b32_e32 v3, v3, v22
	s_delay_alu instid0(VALU_DEP_1) | instskip(NEXT) | instid1(VALU_DEP_1)
	v_sub_nc_u32_e32 v3, v3, v22
	.loc	1 25 53 is_stmt 1               ; matmul.py:25:53
	v_mad_u64_u32 v[5:6], null, v3, s23, v[1:2]
	.loc	1 0 0 is_stmt 0                 ; matmul.py:0
	v_add_nc_u32_e32 v3, 24, v31
	s_delay_alu instid0(VALU_DEP_2) | instskip(NEXT) | instid1(VALU_DEP_1)
	.loc	1 25 22                         ; matmul.py:25:22
	v_ashrrev_i32_e32 v6, 31, v5
	v_lshlrev_b64 v[15:16], 1, v[5:6]
	.loc	1 0 0                           ; matmul.py:0
	v_mad_u64_u32 v[5:6], null, v12, v26, 0
	s_delay_alu instid0(VALU_DEP_2) | instskip(NEXT) | instid1(VALU_DEP_1)
	.loc	1 25 22                         ; matmul.py:25:22
	v_add_co_u32 v67, vcc_lo, s12, v15
	v_add_co_ci_u32_e64 v68, null, s13, v16, vcc_lo
	scratch_store_b64 off, v[15:16], off offset:8 ; 8-byte Folded Spill
	.loc	1 30 20 is_stmt 1               ; matmul.py:30:20
	s_and_saveexec_b32 s5, s2
	s_cbranch_execz .LBB0_4
; %bb.3:
	global_load_u16 v9, v[67:68], off
.LBB0_4:
	.loc	1 0 20 is_stmt 0                ; matmul.py:0:20
	s_or_b32 exec_lo, exec_lo, s5
	.loc	1 22 68 is_stmt 1               ; matmul.py:22:68
	v_mul_lo_u32 v5, v7, s4
	v_dual_mov_b32 v10, 0 :: v_dual_mov_b32 v13, 0
	s_delay_alu instid0(VALU_DEP_2) | instskip(NEXT) | instid1(VALU_DEP_1)
	v_sub_nc_u32_e32 v2, v2, v5
	v_subrev_nc_u32_e32 v5, s4, v2
	v_cmp_le_u32_e32 vcc_lo, s4, v2
	s_delay_alu instid0(VALU_DEP_2) | instskip(NEXT) | instid1(VALU_DEP_1)
	v_cndmask_b32_e32 v2, v2, v5, vcc_lo
	v_subrev_nc_u32_e32 v5, s4, v2
	v_cmp_le_u32_e32 vcc_lo, s4, v2
	s_delay_alu instid0(VALU_DEP_2) | instskip(NEXT) | instid1(VALU_DEP_1)
	v_dual_cndmask_b32 v2, v2, v5 :: v_dual_add_nc_u32 v5, 28, v31
	v_xor_b32_e32 v2, v2, v22
	s_delay_alu instid0(VALU_DEP_1) | instskip(NEXT) | instid1(VALU_DEP_1)
	v_sub_nc_u32_e32 v2, v2, v22
	.loc	1 25 53                         ; matmul.py:25:53
	v_mad_u64_u32 v[15:16], null, v2, s23, v[1:2]
	s_delay_alu instid0(VALU_DEP_1) | instskip(NEXT) | instid1(VALU_DEP_1)
	.loc	1 25 22 is_stmt 0               ; matmul.py:25:22
	v_ashrrev_i32_e32 v16, 31, v15
	v_lshlrev_b64 v[17:18], 1, v[15:16]
	.loc	1 0 0                           ; matmul.py:0
	v_xor_b32_e32 v16, v3, v22
	v_mad_u64_u32 v[2:3], null, v14, v26, 0
	s_delay_alu instid0(VALU_DEP_3) | instskip(NEXT) | instid1(VALU_DEP_1)
	.loc	1 25 22                         ; matmul.py:25:22
	v_add_co_u32 v69, vcc_lo, s12, v17
	v_add_co_ci_u32_e64 v70, null, s13, v18, vcc_lo
	scratch_store_b64 off, v[17:18], off offset:16 ; 8-byte Folded Spill
	.loc	1 30 20 is_stmt 1               ; matmul.py:30:20
	s_and_saveexec_b32 s5, s2
	s_cbranch_execz .LBB0_6
; %bb.5:
	global_load_u16 v13, v[69:70], off
.LBB0_6:
	.loc	1 0 20 is_stmt 0                ; matmul.py:0:20
	s_or_b32 exec_lo, exec_lo, s5
	.loc	1 22 68 is_stmt 1               ; matmul.py:22:68
	v_mul_lo_u32 v2, v4, s4
	.loc	1 0 0 is_stmt 0                 ; matmul.py:0
	v_xor_b32_e32 v18, v5, v22
	s_delay_alu instid0(VALU_DEP_2) | instskip(NEXT) | instid1(VALU_DEP_1)
	.loc	1 22 68                         ; matmul.py:22:68
	v_sub_nc_u32_e32 v2, v8, v2
	v_subrev_nc_u32_e32 v4, s4, v2
	v_cmp_le_u32_e32 vcc_lo, s4, v2
	s_delay_alu instid0(VALU_DEP_2) | instskip(NEXT) | instid1(VALU_DEP_1)
	v_cndmask_b32_e32 v2, v2, v4, vcc_lo
	v_subrev_nc_u32_e32 v4, s4, v2
	v_cmp_le_u32_e32 vcc_lo, s4, v2
	s_delay_alu instid0(VALU_DEP_2) | instskip(SKIP_1) | instid1(VALU_DEP_2)
	v_cndmask_b32_e32 v2, v2, v4, vcc_lo
	.loc	1 0 0                           ; matmul.py:0
	v_add_nc_u32_e32 v4, 32, v31
	.loc	1 22 68                         ; matmul.py:22:68
	v_xor_b32_e32 v2, v2, v22
	s_delay_alu instid0(VALU_DEP_1) | instskip(NEXT) | instid1(VALU_DEP_1)
	v_sub_nc_u32_e32 v2, v2, v22
	.loc	1 25 53 is_stmt 1               ; matmul.py:25:53
	v_mad_u64_u32 v[7:8], null, v2, s23, v[1:2]
	s_delay_alu instid0(VALU_DEP_1) | instskip(NEXT) | instid1(VALU_DEP_1)
	.loc	1 25 22 is_stmt 0               ; matmul.py:25:22
	v_ashrrev_i32_e32 v8, 31, v7
	v_lshlrev_b64 v[19:20], 1, v[7:8]
	.loc	1 0 0                           ; matmul.py:0
	v_mad_u64_u32 v[7:8], null, v16, v26, 0
	s_delay_alu instid0(VALU_DEP_2) | instskip(NEXT) | instid1(VALU_DEP_1)
	.loc	1 25 22                         ; matmul.py:25:22
	v_add_co_u32 v71, vcc_lo, s12, v19
	v_add_co_ci_u32_e64 v72, null, s13, v20, vcc_lo
	scratch_store_b64 off, v[19:20], off offset:24 ; 8-byte Folded Spill
	.loc	1 30 20 is_stmt 1               ; matmul.py:30:20
	s_and_saveexec_b32 s5, s2
	s_cbranch_execz .LBB0_8
; %bb.7:
	global_load_u16 v10, v[71:72], off
.LBB0_8:
	.loc	1 0 20 is_stmt 0                ; matmul.py:0:20
	s_or_b32 exec_lo, exec_lo, s5
	.loc	1 22 68 is_stmt 1               ; matmul.py:22:68
	v_mul_lo_u32 v2, v6, s4
	.loc	1 0 0 is_stmt 0                 ; matmul.py:0
	v_xor_b32_e32 v7, v4, v22
	v_mov_b32_e32 v15, 0
	s_delay_alu instid0(VALU_DEP_3) | instskip(SKIP_1) | instid1(VALU_DEP_2)
	.loc	1 22 68                         ; matmul.py:22:68
	v_sub_nc_u32_e32 v2, v12, v2
	v_mov_b32_e32 v12, 0
	v_subrev_nc_u32_e32 v5, s4, v2
	v_cmp_le_u32_e32 vcc_lo, s4, v2
	s_delay_alu instid0(VALU_DEP_2) | instskip(NEXT) | instid1(VALU_DEP_1)
	v_cndmask_b32_e32 v2, v2, v5, vcc_lo
	v_subrev_nc_u32_e32 v5, s4, v2
	v_cmp_le_u32_e32 vcc_lo, s4, v2
	s_delay_alu instid0(VALU_DEP_2) | instskip(NEXT) | instid1(VALU_DEP_1)
	v_cndmask_b32_e32 v2, v2, v5, vcc_lo
	v_xor_b32_e32 v2, v2, v22
	s_delay_alu instid0(VALU_DEP_1) | instskip(NEXT) | instid1(VALU_DEP_1)
	v_sub_nc_u32_e32 v2, v2, v22
	.loc	1 25 53 is_stmt 1               ; matmul.py:25:53
	v_mad_u64_u32 v[5:6], null, v2, s23, v[1:2]
	.loc	1 0 0 is_stmt 0                 ; matmul.py:0
	v_add_nc_u32_e32 v2, 36, v31
	s_delay_alu instid0(VALU_DEP_2) | instskip(NEXT) | instid1(VALU_DEP_1)
	.loc	1 25 22                         ; matmul.py:25:22
	v_ashrrev_i32_e32 v6, 31, v5
	v_lshlrev_b64 v[19:20], 1, v[5:6]
	.loc	1 0 0                           ; matmul.py:0
	v_mad_u64_u32 v[4:5], null, v18, v26, 0
	s_delay_alu instid0(VALU_DEP_2) | instskip(NEXT) | instid1(VALU_DEP_1)
	.loc	1 25 22                         ; matmul.py:25:22
	v_add_co_u32 v73, vcc_lo, s12, v19
	v_add_co_ci_u32_e64 v74, null, s13, v20, vcc_lo
	scratch_store_b64 off, v[19:20], off offset:32 ; 8-byte Folded Spill
	.loc	1 30 20 is_stmt 1               ; matmul.py:30:20
	s_and_saveexec_b32 s5, s2
	s_cbranch_execz .LBB0_10
; %bb.9:
	global_load_u16 v15, v[73:74], off
.LBB0_10:
	.loc	1 0 20 is_stmt 0                ; matmul.py:0:20
	s_or_b32 exec_lo, exec_lo, s5
	.loc	1 22 68 is_stmt 1               ; matmul.py:22:68
	v_mul_lo_u32 v3, v3, s4
	.loc	1 0 0 is_stmt 0                 ; matmul.py:0
	v_xor_b32_e32 v20, v2, v22
	s_delay_alu instid0(VALU_DEP_2) | instskip(SKIP_1) | instid1(VALU_DEP_2)
	.loc	1 22 68                         ; matmul.py:22:68
	v_sub_nc_u32_e32 v3, v14, v3
	.loc	1 0 0                           ; matmul.py:0
	v_add_nc_u32_e32 v14, 40, v31
	.loc	1 22 68                         ; matmul.py:22:68
	v_subrev_nc_u32_e32 v4, s4, v3
	v_cmp_le_u32_e32 vcc_lo, s4, v3
	s_delay_alu instid0(VALU_DEP_2) | instskip(NEXT) | instid1(VALU_DEP_1)
	v_cndmask_b32_e32 v3, v3, v4, vcc_lo
	v_subrev_nc_u32_e32 v4, s4, v3
	v_cmp_le_u32_e32 vcc_lo, s4, v3
	s_delay_alu instid0(VALU_DEP_2) | instskip(NEXT) | instid1(VALU_DEP_1)
	v_cndmask_b32_e32 v3, v3, v4, vcc_lo
	v_xor_b32_e32 v3, v3, v22
	s_delay_alu instid0(VALU_DEP_1) | instskip(NEXT) | instid1(VALU_DEP_1)
	v_sub_nc_u32_e32 v6, v3, v22
	.loc	1 25 53 is_stmt 1               ; matmul.py:25:53
	v_mad_u64_u32 v[3:4], null, v6, s23, v[1:2]
	s_delay_alu instid0(VALU_DEP_1) | instskip(NEXT) | instid1(VALU_DEP_1)
	.loc	1 25 22 is_stmt 0               ; matmul.py:25:22
	v_ashrrev_i32_e32 v4, 31, v3
	v_lshlrev_b64 v[23:24], 1, v[3:4]
	.loc	1 0 0                           ; matmul.py:0
	v_mad_u64_u32 v[3:4], null, v7, v26, 0
	s_delay_alu instid0(VALU_DEP_2) | instskip(NEXT) | instid1(VALU_DEP_1)
	.loc	1 25 22                         ; matmul.py:25:22
	v_add_co_u32 v75, vcc_lo, s12, v23
	v_add_co_ci_u32_e64 v76, null, s13, v24, vcc_lo
	scratch_store_b64 off, v[23:24], off offset:40 ; 8-byte Folded Spill
	.loc	1 30 20 is_stmt 1               ; matmul.py:30:20
	s_and_saveexec_b32 s5, s2
	s_cbranch_execz .LBB0_12
; %bb.11:
	global_load_u16 v12, v[75:76], off
.LBB0_12:
	.loc	1 0 20 is_stmt 0                ; matmul.py:0:20
	s_or_b32 exec_lo, exec_lo, s5
	.loc	1 22 68 is_stmt 1               ; matmul.py:22:68
	v_mul_lo_u32 v2, v8, s4
	.loc	1 0 0 is_stmt 0                 ; matmul.py:0
	v_xor_b32_e32 v8, v14, v22
	v_mov_b32_e32 v14, 0
	s_delay_alu instid0(VALU_DEP_3) | instskip(NEXT) | instid1(VALU_DEP_1)
	.loc	1 22 68                         ; matmul.py:22:68
	v_sub_nc_u32_e32 v2, v16, v2
	v_subrev_nc_u32_e32 v3, s4, v2
	v_cmp_le_u32_e32 vcc_lo, s4, v2
	s_delay_alu instid0(VALU_DEP_2) | instskip(NEXT) | instid1(VALU_DEP_1)
	v_cndmask_b32_e32 v2, v2, v3, vcc_lo
	v_subrev_nc_u32_e32 v3, s4, v2
	v_cmp_le_u32_e32 vcc_lo, s4, v2
	s_delay_alu instid0(VALU_DEP_2) | instskip(NEXT) | instid1(VALU_DEP_1)
	v_cndmask_b32_e32 v2, v2, v3, vcc_lo
	v_xor_b32_e32 v2, v2, v22
	s_delay_alu instid0(VALU_DEP_1) | instskip(NEXT) | instid1(VALU_DEP_1)
	v_sub_nc_u32_e32 v6, v2, v22
	.loc	1 25 53 is_stmt 1               ; matmul.py:25:53
	v_mad_u64_u32 v[2:3], null, v6, s23, v[1:2]
	.loc	1 0 0 is_stmt 0                 ; matmul.py:0
	v_add_nc_u32_e32 v6, 44, v31
	s_delay_alu instid0(VALU_DEP_2) | instskip(NEXT) | instid1(VALU_DEP_1)
	.loc	1 25 22                         ; matmul.py:25:22
	v_ashrrev_i32_e32 v3, 31, v2
	v_lshlrev_b64 v[16:17], 1, v[2:3]
	.loc	1 0 0                           ; matmul.py:0
	v_mad_u64_u32 v[2:3], null, v20, v26, 0
	s_delay_alu instid0(VALU_DEP_2)
	.loc	1 25 22                         ; matmul.py:25:22
	v_add_co_u32 v77, vcc_lo, s12, v16
	scratch_store_b64 off, v[16:17], off offset:48 ; 8-byte Folded Spill
	v_add_co_ci_u32_e64 v78, null, s13, v17, vcc_lo
	v_mov_b32_e32 v17, 0
	.loc	1 30 20 is_stmt 1               ; matmul.py:30:20
	s_and_saveexec_b32 s5, s2
	s_cbranch_execz .LBB0_14
; %bb.13:
	global_load_u16 v17, v[77:78], off
.LBB0_14:
	.loc	1 0 20 is_stmt 0                ; matmul.py:0:20
	s_or_b32 exec_lo, exec_lo, s5
	.loc	1 22 68 is_stmt 1               ; matmul.py:22:68
	v_mul_lo_u32 v2, v5, s4
	.loc	1 0 0 is_stmt 0                 ; matmul.py:0
	v_xor_b32_e32 v23, v6, v22
	v_add_nc_u32_e32 v16, 48, v31
	s_delay_alu instid0(VALU_DEP_3) | instskip(NEXT) | instid1(VALU_DEP_1)
	.loc	1 22 68                         ; matmul.py:22:68
	v_sub_nc_u32_e32 v2, v18, v2
	v_subrev_nc_u32_e32 v5, s4, v2
	v_cmp_le_u32_e32 vcc_lo, s4, v2
	s_delay_alu instid0(VALU_DEP_2) | instskip(NEXT) | instid1(VALU_DEP_1)
	v_cndmask_b32_e32 v2, v2, v5, vcc_lo
	v_subrev_nc_u32_e32 v5, s4, v2
	v_cmp_le_u32_e32 vcc_lo, s4, v2
	s_delay_alu instid0(VALU_DEP_2) | instskip(SKIP_1) | instid1(VALU_DEP_2)
	v_cndmask_b32_e32 v2, v2, v5, vcc_lo
	.loc	1 0 0                           ; matmul.py:0
	v_mad_u64_u32 v[5:6], null, v8, v26, 0
	.loc	1 22 68                         ; matmul.py:22:68
	v_xor_b32_e32 v2, v2, v22
	s_delay_alu instid0(VALU_DEP_1) | instskip(NEXT) | instid1(VALU_DEP_1)
	v_sub_nc_u32_e32 v2, v2, v22
	.loc	1 25 53 is_stmt 1               ; matmul.py:25:53
	v_mad_u64_u32 v[18:19], null, v2, s23, v[1:2]
	s_delay_alu instid0(VALU_DEP_1) | instskip(NEXT) | instid1(VALU_DEP_1)
	.loc	1 25 22 is_stmt 0               ; matmul.py:25:22
	v_ashrrev_i32_e32 v19, 31, v18
	v_lshlrev_b64 v[18:19], 1, v[18:19]
	s_delay_alu instid0(VALU_DEP_1) | instskip(NEXT) | instid1(VALU_DEP_1)
	v_add_co_u32 v79, vcc_lo, s12, v18
	v_add_co_ci_u32_e64 v80, null, s13, v19, vcc_lo
	scratch_store_b64 off, v[18:19], off offset:56 ; 8-byte Folded Spill
	.loc	1 30 20 is_stmt 1               ; matmul.py:30:20
	s_and_saveexec_b32 s5, s2
	s_cbranch_execz .LBB0_16
; %bb.15:
	global_load_u16 v14, v[79:80], off
.LBB0_16:
	.loc	1 0 20 is_stmt 0                ; matmul.py:0:20
	s_or_b32 exec_lo, exec_lo, s5
	.loc	1 22 68 is_stmt 1               ; matmul.py:22:68
	v_mul_lo_u32 v2, v4, s4
	s_delay_alu instid0(VALU_DEP_1) | instskip(SKIP_2) | instid1(VALU_DEP_3)
	v_sub_nc_u32_e32 v2, v7, v2
	.loc	1 0 0 is_stmt 0                 ; matmul.py:0
	v_xor_b32_e32 v7, v16, v22
	v_mov_b32_e32 v16, 0
	.loc	1 22 68                         ; matmul.py:22:68
	v_subrev_nc_u32_e32 v4, s4, v2
	v_cmp_le_u32_e32 vcc_lo, s4, v2
	s_delay_alu instid0(VALU_DEP_2) | instskip(NEXT) | instid1(VALU_DEP_1)
	v_cndmask_b32_e32 v2, v2, v4, vcc_lo
	v_subrev_nc_u32_e32 v4, s4, v2
	v_cmp_le_u32_e32 vcc_lo, s4, v2
	s_delay_alu instid0(VALU_DEP_2) | instskip(NEXT) | instid1(VALU_DEP_1)
	v_cndmask_b32_e32 v2, v2, v4, vcc_lo
	v_xor_b32_e32 v2, v2, v22
	s_delay_alu instid0(VALU_DEP_1) | instskip(NEXT) | instid1(VALU_DEP_1)
	v_sub_nc_u32_e32 v2, v2, v22
	.loc	1 25 53 is_stmt 1               ; matmul.py:25:53
	v_mad_u64_u32 v[4:5], null, v2, s23, v[1:2]
	.loc	1 0 0 is_stmt 0                 ; matmul.py:0
	v_add_nc_u32_e32 v2, 52, v31
	s_delay_alu instid0(VALU_DEP_2) | instskip(NEXT) | instid1(VALU_DEP_1)
	.loc	1 25 22                         ; matmul.py:25:22
	v_ashrrev_i32_e32 v5, 31, v4
	v_lshlrev_b64 v[18:19], 1, v[4:5]
	.loc	1 0 0                           ; matmul.py:0
	v_mad_u64_u32 v[4:5], null, v23, v26, 0
	s_delay_alu instid0(VALU_DEP_2)
	.loc	1 25 22                         ; matmul.py:25:22
	v_add_co_u32 v81, vcc_lo, s12, v18
	scratch_store_b64 off, v[18:19], off offset:64 ; 8-byte Folded Spill
	v_add_co_ci_u32_e64 v82, null, s13, v19, vcc_lo
	v_mov_b32_e32 v19, 0
	.loc	1 30 20 is_stmt 1               ; matmul.py:30:20
	s_and_saveexec_b32 s5, s2
	s_cbranch_execz .LBB0_18
; %bb.17:
	global_load_u16 v19, v[81:82], off
.LBB0_18:
	.loc	1 0 20 is_stmt 0                ; matmul.py:0:20
	s_or_b32 exec_lo, exec_lo, s5
	.loc	1 22 68 is_stmt 1               ; matmul.py:22:68
	v_mul_lo_u32 v3, v3, s4
	.loc	1 0 0 is_stmt 0                 ; matmul.py:0
	v_xor_b32_e32 v25, v2, v22
	s_delay_alu instid0(VALU_DEP_2) | instskip(NEXT) | instid1(VALU_DEP_1)
	.loc	1 22 68                         ; matmul.py:22:68
	v_sub_nc_u32_e32 v3, v20, v3
	v_subrev_nc_u32_e32 v4, s4, v3
	v_cmp_le_u32_e32 vcc_lo, s4, v3
	s_delay_alu instid0(VALU_DEP_2) | instskip(NEXT) | instid1(VALU_DEP_1)
	v_cndmask_b32_e32 v3, v3, v4, vcc_lo
	v_subrev_nc_u32_e32 v4, s4, v3
	v_cmp_le_u32_e32 vcc_lo, s4, v3
	s_delay_alu instid0(VALU_DEP_2) | instskip(NEXT) | instid1(VALU_DEP_1)
	v_cndmask_b32_e32 v3, v3, v4, vcc_lo
	v_xor_b32_e32 v3, v3, v22
	s_delay_alu instid0(VALU_DEP_1) | instskip(NEXT) | instid1(VALU_DEP_1)
	v_sub_nc_u32_e32 v18, v3, v22
	.loc	1 25 53 is_stmt 1               ; matmul.py:25:53
	v_mad_u64_u32 v[3:4], null, v18, s23, v[1:2]
	.loc	1 0 0 is_stmt 0                 ; matmul.py:0
	v_add_nc_u32_e32 v18, 56, v31
	s_delay_alu instid0(VALU_DEP_2) | instskip(NEXT) | instid1(VALU_DEP_1)
	.loc	1 25 22                         ; matmul.py:25:22
	v_ashrrev_i32_e32 v4, 31, v3
	v_lshlrev_b64 v[20:21], 1, v[3:4]
	.loc	1 0 0                           ; matmul.py:0
	v_mad_u64_u32 v[3:4], null, v7, v26, 0
	s_delay_alu instid0(VALU_DEP_2) | instskip(NEXT) | instid1(VALU_DEP_1)
	.loc	1 25 22                         ; matmul.py:25:22
	v_add_co_u32 v83, vcc_lo, s12, v20
	v_add_co_ci_u32_e64 v84, null, s13, v21, vcc_lo
	scratch_store_b64 off, v[20:21], off offset:72 ; 8-byte Folded Spill
	.loc	1 30 20 is_stmt 1               ; matmul.py:30:20
	s_and_saveexec_b32 s5, s2
	s_cbranch_execz .LBB0_20
; %bb.19:
	global_load_u16 v16, v[83:84], off
.LBB0_20:
	.loc	1 0 20 is_stmt 0                ; matmul.py:0:20
	s_or_b32 exec_lo, exec_lo, s5
	.loc	1 22 68 is_stmt 1               ; matmul.py:22:68
	v_mul_lo_u32 v2, v6, s4
	s_delay_alu instid0(VALU_DEP_1) | instskip(SKIP_2) | instid1(VALU_DEP_3)
	v_sub_nc_u32_e32 v2, v8, v2
	.loc	1 0 0 is_stmt 0                 ; matmul.py:0
	v_xor_b32_e32 v8, v18, v22
	v_mov_b32_e32 v18, 0
	.loc	1 22 68                         ; matmul.py:22:68
	v_subrev_nc_u32_e32 v3, s4, v2
	v_cmp_le_u32_e32 vcc_lo, s4, v2
	s_delay_alu instid0(VALU_DEP_2) | instskip(NEXT) | instid1(VALU_DEP_1)
	v_cndmask_b32_e32 v2, v2, v3, vcc_lo
	v_subrev_nc_u32_e32 v3, s4, v2
	v_cmp_le_u32_e32 vcc_lo, s4, v2
	s_delay_alu instid0(VALU_DEP_2) | instskip(NEXT) | instid1(VALU_DEP_1)
	v_cndmask_b32_e32 v2, v2, v3, vcc_lo
	v_xor_b32_e32 v2, v2, v22
	s_delay_alu instid0(VALU_DEP_1) | instskip(NEXT) | instid1(VALU_DEP_1)
	v_sub_nc_u32_e32 v6, v2, v22
	.loc	1 25 53 is_stmt 1               ; matmul.py:25:53
	v_mad_u64_u32 v[2:3], null, v6, s23, v[1:2]
	.loc	1 0 0 is_stmt 0                 ; matmul.py:0
	v_add_nc_u32_e32 v6, 60, v31
	s_delay_alu instid0(VALU_DEP_2) | instskip(NEXT) | instid1(VALU_DEP_1)
	.loc	1 25 22                         ; matmul.py:25:22
	v_ashrrev_i32_e32 v3, 31, v2
	v_lshlrev_b64 v[20:21], 1, v[2:3]
	.loc	1 0 0                           ; matmul.py:0
	v_mad_u64_u32 v[2:3], null, v25, v26, 0
	s_delay_alu instid0(VALU_DEP_2)
	.loc	1 25 22                         ; matmul.py:25:22
	v_add_co_u32 v85, vcc_lo, s12, v20
	scratch_store_b64 off, v[20:21], off offset:80 ; 8-byte Folded Spill
	v_add_co_ci_u32_e64 v86, null, s13, v21, vcc_lo
	v_mov_b32_e32 v21, 0
	.loc	1 30 20 is_stmt 1               ; matmul.py:30:20
	s_and_saveexec_b32 s5, s2
	s_cbranch_execz .LBB0_22
; %bb.21:
	global_load_u16 v21, v[85:86], off
.LBB0_22:
	.loc	1 0 20 is_stmt 0                ; matmul.py:0:20
	s_or_b32 exec_lo, exec_lo, s5
	.loc	1 22 68 is_stmt 1               ; matmul.py:22:68
	v_mul_lo_u32 v2, v5, s4
	.loc	1 0 0 is_stmt 0                 ; matmul.py:0
	v_xor_b32_e32 v28, v6, v22
	v_add_nc_u32_e32 v20, 64, v31
	s_delay_alu instid0(VALU_DEP_3) | instskip(NEXT) | instid1(VALU_DEP_1)
	.loc	1 22 68                         ; matmul.py:22:68
	v_sub_nc_u32_e32 v2, v23, v2
	v_subrev_nc_u32_e32 v5, s4, v2
	v_cmp_le_u32_e32 vcc_lo, s4, v2
	s_delay_alu instid0(VALU_DEP_2) | instskip(NEXT) | instid1(VALU_DEP_1)
	v_cndmask_b32_e32 v2, v2, v5, vcc_lo
	v_subrev_nc_u32_e32 v5, s4, v2
	v_cmp_le_u32_e32 vcc_lo, s4, v2
	s_delay_alu instid0(VALU_DEP_2) | instskip(SKIP_1) | instid1(VALU_DEP_2)
	v_cndmask_b32_e32 v2, v2, v5, vcc_lo
	.loc	1 0 0                           ; matmul.py:0
	v_mad_u64_u32 v[5:6], null, v8, v26, 0
	.loc	1 22 68                         ; matmul.py:22:68
	v_xor_b32_e32 v2, v2, v22
	s_delay_alu instid0(VALU_DEP_1) | instskip(NEXT) | instid1(VALU_DEP_1)
	v_sub_nc_u32_e32 v2, v2, v22
	.loc	1 25 53 is_stmt 1               ; matmul.py:25:53
	v_mad_u64_u32 v[23:24], null, v2, s23, v[1:2]
	s_delay_alu instid0(VALU_DEP_1) | instskip(NEXT) | instid1(VALU_DEP_1)
	.loc	1 25 22 is_stmt 0               ; matmul.py:25:22
	v_ashrrev_i32_e32 v24, 31, v23
	v_lshlrev_b64 v[23:24], 1, v[23:24]
	s_delay_alu instid0(VALU_DEP_1) | instskip(NEXT) | instid1(VALU_DEP_1)
	v_add_co_u32 v87, vcc_lo, s12, v23
	v_add_co_ci_u32_e64 v88, null, s13, v24, vcc_lo
	scratch_store_b64 off, v[23:24], off offset:88 ; 8-byte Folded Spill
	.loc	1 30 20 is_stmt 1               ; matmul.py:30:20
	s_and_saveexec_b32 s5, s2
	s_cbranch_execz .LBB0_24
; %bb.23:
	global_load_u16 v18, v[87:88], off
.LBB0_24:
	.loc	1 0 20 is_stmt 0                ; matmul.py:0:20
	s_or_b32 exec_lo, exec_lo, s5
	.loc	1 22 68 is_stmt 1               ; matmul.py:22:68
	v_mul_lo_u32 v2, v4, s4
	s_delay_alu instid0(VALU_DEP_1) | instskip(SKIP_2) | instid1(VALU_DEP_3)
	v_sub_nc_u32_e32 v2, v7, v2
	.loc	1 0 0 is_stmt 0                 ; matmul.py:0
	v_xor_b32_e32 v7, v20, v22
	v_mov_b32_e32 v20, 0
	.loc	1 22 68                         ; matmul.py:22:68
	v_subrev_nc_u32_e32 v4, s4, v2
	v_cmp_le_u32_e32 vcc_lo, s4, v2
	s_delay_alu instid0(VALU_DEP_2) | instskip(NEXT) | instid1(VALU_DEP_1)
	v_cndmask_b32_e32 v2, v2, v4, vcc_lo
	v_subrev_nc_u32_e32 v4, s4, v2
	v_cmp_le_u32_e32 vcc_lo, s4, v2
	s_delay_alu instid0(VALU_DEP_2) | instskip(NEXT) | instid1(VALU_DEP_1)
	v_cndmask_b32_e32 v2, v2, v4, vcc_lo
	v_xor_b32_e32 v2, v2, v22
	s_delay_alu instid0(VALU_DEP_1) | instskip(NEXT) | instid1(VALU_DEP_1)
	v_sub_nc_u32_e32 v2, v2, v22
	.loc	1 25 53 is_stmt 1               ; matmul.py:25:53
	v_mad_u64_u32 v[4:5], null, v2, s23, v[1:2]
	.loc	1 0 0 is_stmt 0                 ; matmul.py:0
	v_add_nc_u32_e32 v2, 0x44, v31
	s_delay_alu instid0(VALU_DEP_2) | instskip(NEXT) | instid1(VALU_DEP_1)
	.loc	1 25 22                         ; matmul.py:25:22
	v_ashrrev_i32_e32 v5, 31, v4
	v_lshlrev_b64 v[23:24], 1, v[4:5]
	.loc	1 0 0                           ; matmul.py:0
	v_mad_u64_u32 v[4:5], null, v28, v26, 0
	s_delay_alu instid0(VALU_DEP_2)
	.loc	1 25 22                         ; matmul.py:25:22
	v_add_co_u32 v89, vcc_lo, s12, v23
	scratch_store_b64 off, v[23:24], off offset:96 ; 8-byte Folded Spill
	v_add_co_ci_u32_e64 v90, null, s13, v24, vcc_lo
	v_mov_b32_e32 v24, 0
	.loc	1 30 20 is_stmt 1               ; matmul.py:30:20
	s_and_saveexec_b32 s5, s2
	s_cbranch_execz .LBB0_26
; %bb.25:
	global_load_u16 v24, v[89:90], off
.LBB0_26:
	.loc	1 0 20 is_stmt 0                ; matmul.py:0:20
	s_or_b32 exec_lo, exec_lo, s5
	.loc	1 22 68 is_stmt 1               ; matmul.py:22:68
	v_mul_lo_u32 v3, v3, s4
	.loc	1 0 0 is_stmt 0                 ; matmul.py:0
	v_xor_b32_e32 v32, v2, v22
	s_delay_alu instid0(VALU_DEP_2) | instskip(NEXT) | instid1(VALU_DEP_1)
	.loc	1 22 68                         ; matmul.py:22:68
	v_sub_nc_u32_e32 v3, v25, v3
	v_subrev_nc_u32_e32 v4, s4, v3
	v_cmp_le_u32_e32 vcc_lo, s4, v3
	s_delay_alu instid0(VALU_DEP_2) | instskip(NEXT) | instid1(VALU_DEP_1)
	v_cndmask_b32_e32 v3, v3, v4, vcc_lo
	v_subrev_nc_u32_e32 v4, s4, v3
	v_cmp_le_u32_e32 vcc_lo, s4, v3
	s_delay_alu instid0(VALU_DEP_2) | instskip(NEXT) | instid1(VALU_DEP_1)
	v_cndmask_b32_e32 v3, v3, v4, vcc_lo
	v_xor_b32_e32 v3, v3, v22
	s_delay_alu instid0(VALU_DEP_1) | instskip(NEXT) | instid1(VALU_DEP_1)
	v_sub_nc_u32_e32 v23, v3, v22
	.loc	1 25 53 is_stmt 1               ; matmul.py:25:53
	v_mad_u64_u32 v[3:4], null, v23, s23, v[1:2]
	.loc	1 0 0 is_stmt 0                 ; matmul.py:0
	v_add_nc_u32_e32 v23, 0x48, v31
	s_delay_alu instid0(VALU_DEP_2) | instskip(NEXT) | instid1(VALU_DEP_1)
	.loc	1 25 22                         ; matmul.py:25:22
	v_ashrrev_i32_e32 v4, 31, v3
	v_lshlrev_b64 v[33:34], 1, v[3:4]
	.loc	1 0 0                           ; matmul.py:0
	v_mad_u64_u32 v[3:4], null, v7, v26, 0
	s_delay_alu instid0(VALU_DEP_2) | instskip(NEXT) | instid1(VALU_DEP_1)
	.loc	1 25 22                         ; matmul.py:25:22
	v_add_co_u32 v91, vcc_lo, s12, v33
	v_add_co_ci_u32_e64 v92, null, s13, v34, vcc_lo
	scratch_store_b64 off, v[33:34], off offset:104 ; 8-byte Folded Spill
	.loc	1 30 20 is_stmt 1               ; matmul.py:30:20
	s_and_saveexec_b32 s5, s2
	s_cbranch_execz .LBB0_28
; %bb.27:
	global_load_u16 v20, v[91:92], off
.LBB0_28:
	.loc	1 0 20 is_stmt 0                ; matmul.py:0:20
	s_or_b32 exec_lo, exec_lo, s5
	.loc	1 22 68 is_stmt 1               ; matmul.py:22:68
	v_mul_lo_u32 v2, v6, s4
	.loc	1 0 0 is_stmt 0                 ; matmul.py:0
	v_xor_b32_e32 v33, v23, v22
	v_mov_b32_e32 v23, 0
	v_mov_b32_e32 v27, 0
	s_delay_alu instid0(VALU_DEP_4) | instskip(NEXT) | instid1(VALU_DEP_1)
	.loc	1 22 68                         ; matmul.py:22:68
	v_sub_nc_u32_e32 v2, v8, v2
	v_subrev_nc_u32_e32 v3, s4, v2
	v_cmp_le_u32_e32 vcc_lo, s4, v2
	s_delay_alu instid0(VALU_DEP_2) | instskip(NEXT) | instid1(VALU_DEP_1)
	v_cndmask_b32_e32 v2, v2, v3, vcc_lo
	v_subrev_nc_u32_e32 v3, s4, v2
	v_cmp_le_u32_e32 vcc_lo, s4, v2
	s_delay_alu instid0(VALU_DEP_2) | instskip(NEXT) | instid1(VALU_DEP_1)
	v_cndmask_b32_e32 v2, v2, v3, vcc_lo
	v_xor_b32_e32 v2, v2, v22
	s_delay_alu instid0(VALU_DEP_1) | instskip(NEXT) | instid1(VALU_DEP_1)
	v_sub_nc_u32_e32 v6, v2, v22
	.loc	1 25 53 is_stmt 1               ; matmul.py:25:53
	v_mad_u64_u32 v[2:3], null, v6, s23, v[1:2]
	.loc	1 0 0 is_stmt 0                 ; matmul.py:0
	v_add_nc_u32_e32 v6, 0x4c, v31
	s_delay_alu instid0(VALU_DEP_2) | instskip(NEXT) | instid1(VALU_DEP_1)
	.loc	1 25 22                         ; matmul.py:25:22
	v_ashrrev_i32_e32 v3, 31, v2
	v_lshlrev_b64 v[34:35], 1, v[2:3]
	.loc	1 0 0                           ; matmul.py:0
	v_mad_u64_u32 v[2:3], null, v32, v26, 0
	s_delay_alu instid0(VALU_DEP_2) | instskip(NEXT) | instid1(VALU_DEP_1)
	.loc	1 25 22                         ; matmul.py:25:22
	v_add_co_u32 v93, vcc_lo, s12, v34
	v_add_co_ci_u32_e64 v94, null, s13, v35, vcc_lo
	scratch_store_b64 off, v[34:35], off offset:112 ; 8-byte Folded Spill
	.loc	1 30 20 is_stmt 1               ; matmul.py:30:20
	s_and_saveexec_b32 s5, s2
	s_cbranch_execz .LBB0_30
; %bb.29:
	global_load_u16 v27, v[93:94], off
.LBB0_30:
	.loc	1 0 20 is_stmt 0                ; matmul.py:0:20
	s_or_b32 exec_lo, exec_lo, s5
	.loc	1 22 68 is_stmt 1               ; matmul.py:22:68
	v_mul_lo_u32 v2, v5, s4
	.loc	1 0 0 is_stmt 0                 ; matmul.py:0
	v_add_nc_u32_e32 v8, 0x50, v31
	s_delay_alu instid0(VALU_DEP_2) | instskip(NEXT) | instid1(VALU_DEP_1)
	.loc	1 22 68                         ; matmul.py:22:68
	v_sub_nc_u32_e32 v2, v28, v2
	v_subrev_nc_u32_e32 v5, s4, v2
	v_cmp_le_u32_e32 vcc_lo, s4, v2
	s_delay_alu instid0(VALU_DEP_2) | instskip(NEXT) | instid1(VALU_DEP_1)
	v_cndmask_b32_e32 v2, v2, v5, vcc_lo
	v_subrev_nc_u32_e32 v5, s4, v2
	v_cmp_le_u32_e32 vcc_lo, s4, v2
	s_delay_alu instid0(VALU_DEP_2) | instskip(NEXT) | instid1(VALU_DEP_1)
	v_cndmask_b32_e32 v2, v2, v5, vcc_lo
	v_xor_b32_e32 v2, v2, v22
	s_delay_alu instid0(VALU_DEP_1) | instskip(NEXT) | instid1(VALU_DEP_1)
	v_sub_nc_u32_e32 v2, v2, v22
	.loc	1 25 53 is_stmt 1               ; matmul.py:25:53
	v_mad_u64_u32 v[28:29], null, v2, s23, v[1:2]
	.loc	1 0 0 is_stmt 0                 ; matmul.py:0
	v_xor_b32_e32 v2, v6, v22
	v_mad_u64_u32 v[5:6], null, v33, v26, 0
	s_delay_alu instid0(VALU_DEP_3) | instskip(NEXT) | instid1(VALU_DEP_1)
	.loc	1 25 22                         ; matmul.py:25:22
	v_ashrrev_i32_e32 v29, 31, v28
	v_lshlrev_b64 v[28:29], 1, v[28:29]
	s_delay_alu instid0(VALU_DEP_1) | instskip(NEXT) | instid1(VALU_DEP_1)
	v_add_co_u32 v95, vcc_lo, s12, v28
	v_add_co_ci_u32_e64 v96, null, s13, v29, vcc_lo
	scratch_store_b64 off, v[28:29], off offset:120 ; 8-byte Folded Spill
	.loc	1 30 20 is_stmt 1               ; matmul.py:30:20
	s_and_saveexec_b32 s5, s2
	s_cbranch_execz .LBB0_32
; %bb.31:
	global_load_u16 v23, v[95:96], off
.LBB0_32:
	.loc	1 0 20 is_stmt 0                ; matmul.py:0:20
	s_or_b32 exec_lo, exec_lo, s5
	.loc	1 22 68 is_stmt 1               ; matmul.py:22:68
	v_mul_lo_u32 v4, v4, s4
	.loc	1 0 0 is_stmt 0                 ; matmul.py:0
	v_xor_b32_e32 v34, v8, v22
	v_mov_b32_e32 v25, 0
	s_delay_alu instid0(VALU_DEP_3) | instskip(NEXT) | instid1(VALU_DEP_1)
	.loc	1 22 68                         ; matmul.py:22:68
	v_sub_nc_u32_e32 v4, v7, v4
	v_subrev_nc_u32_e32 v5, s4, v4
	v_cmp_le_u32_e32 vcc_lo, s4, v4
	s_delay_alu instid0(VALU_DEP_2) | instskip(NEXT) | instid1(VALU_DEP_1)
	v_cndmask_b32_e32 v4, v4, v5, vcc_lo
	v_subrev_nc_u32_e32 v5, s4, v4
	v_cmp_le_u32_e32 vcc_lo, s4, v4
	s_delay_alu instid0(VALU_DEP_2) | instskip(NEXT) | instid1(VALU_DEP_1)
	v_cndmask_b32_e32 v4, v4, v5, vcc_lo
	v_xor_b32_e32 v4, v4, v22
	s_delay_alu instid0(VALU_DEP_1) | instskip(NEXT) | instid1(VALU_DEP_1)
	v_sub_nc_u32_e32 v7, v4, v22
	.loc	1 25 53 is_stmt 1               ; matmul.py:25:53
	v_mad_u64_u32 v[4:5], null, v7, s23, v[1:2]
	.loc	1 0 0 is_stmt 0                 ; matmul.py:0
	v_add_nc_u32_e32 v7, 0x54, v31
	s_delay_alu instid0(VALU_DEP_2) | instskip(NEXT) | instid1(VALU_DEP_1)
	.loc	1 25 22                         ; matmul.py:25:22
	v_ashrrev_i32_e32 v5, 31, v4
	v_lshlrev_b64 v[28:29], 1, v[4:5]
	.loc	1 0 0                           ; matmul.py:0
	v_mad_u64_u32 v[4:5], null, v2, v26, 0
	s_delay_alu instid0(VALU_DEP_2)
	.loc	1 25 22                         ; matmul.py:25:22
	v_add_co_u32 v97, vcc_lo, s12, v28
	scratch_store_b64 off, v[28:29], off offset:128 ; 8-byte Folded Spill
	v_add_co_ci_u32_e64 v98, null, s13, v29, vcc_lo
	v_mov_b32_e32 v29, 0
	.loc	1 30 20 is_stmt 1               ; matmul.py:30:20
	s_and_saveexec_b32 s5, s2
	s_cbranch_execz .LBB0_34
; %bb.33:
	global_load_u16 v29, v[97:98], off
.LBB0_34:
	.loc	1 0 20 is_stmt 0                ; matmul.py:0:20
	s_or_b32 exec_lo, exec_lo, s5
	.loc	1 22 68 is_stmt 1               ; matmul.py:22:68
	v_mul_lo_u32 v3, v3, s4
	.loc	1 0 0 is_stmt 0                 ; matmul.py:0
	v_xor_b32_e32 v36, v7, v22
	s_delay_alu instid0(VALU_DEP_2) | instskip(NEXT) | instid1(VALU_DEP_1)
	.loc	1 22 68                         ; matmul.py:22:68
	v_sub_nc_u32_e32 v3, v32, v3
	v_subrev_nc_u32_e32 v4, s4, v3
	v_cmp_le_u32_e32 vcc_lo, s4, v3
	s_delay_alu instid0(VALU_DEP_2) | instskip(NEXT) | instid1(VALU_DEP_1)
	v_cndmask_b32_e32 v3, v3, v4, vcc_lo
	v_subrev_nc_u32_e32 v4, s4, v3
	v_cmp_le_u32_e32 vcc_lo, s4, v3
	s_delay_alu instid0(VALU_DEP_2) | instskip(NEXT) | instid1(VALU_DEP_1)
	v_cndmask_b32_e32 v3, v3, v4, vcc_lo
	v_xor_b32_e32 v3, v3, v22
	s_delay_alu instid0(VALU_DEP_1) | instskip(NEXT) | instid1(VALU_DEP_1)
	v_sub_nc_u32_e32 v8, v3, v22
	.loc	1 25 53 is_stmt 1               ; matmul.py:25:53
	v_mad_u64_u32 v[3:4], null, v8, s23, v[1:2]
	.loc	1 0 0 is_stmt 0                 ; matmul.py:0
	v_mad_u64_u32 v[7:8], null, v34, v26, 0
	s_delay_alu instid0(VALU_DEP_2) | instskip(NEXT) | instid1(VALU_DEP_1)
	.loc	1 25 22                         ; matmul.py:25:22
	v_ashrrev_i32_e32 v4, 31, v3
	v_lshlrev_b64 v[37:38], 1, v[3:4]
	.loc	1 0 0                           ; matmul.py:0
	v_add_nc_u32_e32 v3, 0x58, v31
	s_delay_alu instid0(VALU_DEP_2) | instskip(NEXT) | instid1(VALU_DEP_1)
	.loc	1 25 22                         ; matmul.py:25:22
	v_add_co_u32 v99, vcc_lo, s12, v37
	v_add_co_ci_u32_e64 v100, null, s13, v38, vcc_lo
	scratch_store_b64 off, v[37:38], off offset:136 ; 8-byte Folded Spill
	.loc	1 30 20 is_stmt 1               ; matmul.py:30:20
	s_and_saveexec_b32 s5, s2
	s_cbranch_execz .LBB0_36
; %bb.35:
	global_load_u16 v25, v[99:100], off
.LBB0_36:
	.loc	1 0 20 is_stmt 0                ; matmul.py:0:20
	s_or_b32 exec_lo, exec_lo, s5
	.loc	1 22 68 is_stmt 1               ; matmul.py:22:68
	v_mul_lo_u32 v4, v6, s4
	v_mov_b32_e32 v28, 0
	s_delay_alu instid0(VALU_DEP_2) | instskip(NEXT) | instid1(VALU_DEP_1)
	v_sub_nc_u32_e32 v4, v33, v4
	v_subrev_nc_u32_e32 v6, s4, v4
	v_cmp_le_u32_e32 vcc_lo, s4, v4
	s_delay_alu instid0(VALU_DEP_2) | instskip(NEXT) | instid1(VALU_DEP_1)
	v_cndmask_b32_e32 v4, v4, v6, vcc_lo
	v_subrev_nc_u32_e32 v6, s4, v4
	v_cmp_le_u32_e32 vcc_lo, s4, v4
	s_delay_alu instid0(VALU_DEP_2) | instskip(SKIP_1) | instid1(VALU_DEP_2)
	v_cndmask_b32_e32 v4, v4, v6, vcc_lo
	.loc	1 0 0 is_stmt 0                 ; matmul.py:0
	v_add_nc_u32_e32 v6, 0x5c, v31
	.loc	1 22 68                         ; matmul.py:22:68
	v_xor_b32_e32 v4, v4, v22
	s_delay_alu instid0(VALU_DEP_1) | instskip(NEXT) | instid1(VALU_DEP_1)
	v_sub_nc_u32_e32 v4, v4, v22
	.loc	1 25 53 is_stmt 1               ; matmul.py:25:53
	v_mad_u64_u32 v[32:33], null, v4, s23, v[1:2]
	s_delay_alu instid0(VALU_DEP_1) | instskip(NEXT) | instid1(VALU_DEP_1)
	.loc	1 25 22 is_stmt 0               ; matmul.py:25:22
	v_ashrrev_i32_e32 v33, 31, v32
	v_lshlrev_b64 v[37:38], 1, v[32:33]
	.loc	1 0 0                           ; matmul.py:0
	v_xor_b32_e32 v33, v3, v22
	v_mad_u64_u32 v[3:4], null, v36, v26, 0
	v_mov_b32_e32 v32, 0
	s_delay_alu instid0(VALU_DEP_4) | instskip(NEXT) | instid1(VALU_DEP_1)
	.loc	1 25 22                         ; matmul.py:25:22
	v_add_co_u32 v101, vcc_lo, s12, v37
	v_add_co_ci_u32_e64 v102, null, s13, v38, vcc_lo
	scratch_store_b64 off, v[37:38], off offset:144 ; 8-byte Folded Spill
	.loc	1 30 20 is_stmt 1               ; matmul.py:30:20
	s_and_saveexec_b32 s5, s2
	s_cbranch_execz .LBB0_38
; %bb.37:
	global_load_u16 v32, v[101:102], off
.LBB0_38:
	.loc	1 0 20 is_stmt 0                ; matmul.py:0:20
	s_or_b32 exec_lo, exec_lo, s5
	.loc	1 22 68 is_stmt 1               ; matmul.py:22:68
	v_mul_lo_u32 v3, v5, s4
	.loc	1 0 0 is_stmt 0                 ; matmul.py:0
	v_xor_b32_e32 v37, v6, v22
	v_mad_u64_u32 v[6:7], null, v33, v26, 0
	s_delay_alu instid0(VALU_DEP_3) | instskip(NEXT) | instid1(VALU_DEP_1)
	.loc	1 22 68                         ; matmul.py:22:68
	v_sub_nc_u32_e32 v2, v2, v3
	v_subrev_nc_u32_e32 v3, s4, v2
	v_cmp_le_u32_e32 vcc_lo, s4, v2
	s_delay_alu instid0(VALU_DEP_2) | instskip(NEXT) | instid1(VALU_DEP_1)
	v_cndmask_b32_e32 v2, v2, v3, vcc_lo
	v_subrev_nc_u32_e32 v3, s4, v2
	v_cmp_le_u32_e32 vcc_lo, s4, v2
	s_delay_alu instid0(VALU_DEP_2) | instskip(NEXT) | instid1(VALU_DEP_1)
	v_cndmask_b32_e32 v2, v2, v3, vcc_lo
	v_xor_b32_e32 v2, v2, v22
	s_delay_alu instid0(VALU_DEP_1) | instskip(NEXT) | instid1(VALU_DEP_1)
	v_sub_nc_u32_e32 v5, v2, v22
	.loc	1 25 53 is_stmt 1               ; matmul.py:25:53
	v_mad_u64_u32 v[2:3], null, v5, s23, v[1:2]
	s_delay_alu instid0(VALU_DEP_1) | instskip(NEXT) | instid1(VALU_DEP_1)
	.loc	1 25 22 is_stmt 0               ; matmul.py:25:22
	v_ashrrev_i32_e32 v3, 31, v2
	v_lshlrev_b64 v[38:39], 1, v[2:3]
	.loc	1 0 0                           ; matmul.py:0
	v_add_nc_u32_e32 v2, 0x60, v31
	s_delay_alu instid0(VALU_DEP_2) | instskip(NEXT) | instid1(VALU_DEP_1)
	.loc	1 25 22                         ; matmul.py:25:22
	v_add_co_u32 v103, vcc_lo, s12, v38
	v_add_co_ci_u32_e64 v104, null, s13, v39, vcc_lo
	scratch_store_b64 off, v[38:39], off offset:152 ; 8-byte Folded Spill
	.loc	1 30 20 is_stmt 1               ; matmul.py:30:20
	s_and_saveexec_b32 s5, s2
	s_cbranch_execz .LBB0_40
; %bb.39:
	global_load_u16 v28, v[103:104], off
.LBB0_40:
	.loc	1 0 20 is_stmt 0                ; matmul.py:0:20
	s_or_b32 exec_lo, exec_lo, s5
	.loc	1 22 68 is_stmt 1               ; matmul.py:22:68
	v_mul_lo_u32 v3, v8, s4
	v_mov_b32_e32 v8, 0
	s_delay_alu instid0(VALU_DEP_2) | instskip(NEXT) | instid1(VALU_DEP_1)
	v_sub_nc_u32_e32 v3, v34, v3
	v_subrev_nc_u32_e32 v5, s4, v3
	v_cmp_le_u32_e32 vcc_lo, s4, v3
	s_delay_alu instid0(VALU_DEP_2) | instskip(NEXT) | instid1(VALU_DEP_1)
	v_cndmask_b32_e32 v3, v3, v5, vcc_lo
	v_subrev_nc_u32_e32 v5, s4, v3
	v_cmp_le_u32_e32 vcc_lo, s4, v3
	s_delay_alu instid0(VALU_DEP_2) | instskip(SKIP_1) | instid1(VALU_DEP_2)
	v_cndmask_b32_e32 v3, v3, v5, vcc_lo
	.loc	1 0 0 is_stmt 0                 ; matmul.py:0
	v_add_nc_u32_e32 v5, 0x64, v31
	.loc	1 22 68                         ; matmul.py:22:68
	v_xor_b32_e32 v3, v3, v22
	s_delay_alu instid0(VALU_DEP_1) | instskip(NEXT) | instid1(VALU_DEP_1)
	v_sub_nc_u32_e32 v3, v3, v22
	.loc	1 25 53 is_stmt 1               ; matmul.py:25:53
	v_mad_u64_u32 v[34:35], null, v3, s23, v[1:2]
	s_delay_alu instid0(VALU_DEP_1) | instskip(NEXT) | instid1(VALU_DEP_1)
	.loc	1 25 22 is_stmt 0               ; matmul.py:25:22
	v_ashrrev_i32_e32 v35, 31, v34
	v_lshlrev_b64 v[38:39], 1, v[34:35]
	.loc	1 0 0                           ; matmul.py:0
	v_xor_b32_e32 v35, v2, v22
	v_mad_u64_u32 v[2:3], null, v37, v26, 0
	v_mov_b32_e32 v34, 0
	s_delay_alu instid0(VALU_DEP_4) | instskip(NEXT) | instid1(VALU_DEP_1)
	.loc	1 25 22                         ; matmul.py:25:22
	v_add_co_u32 v105, vcc_lo, s12, v38
	v_add_co_ci_u32_e64 v106, null, s13, v39, vcc_lo
	scratch_store_b64 off, v[38:39], off offset:160 ; 8-byte Folded Spill
	.loc	1 30 20 is_stmt 1               ; matmul.py:30:20
	s_and_saveexec_b32 s5, s2
	s_cbranch_execz .LBB0_42
; %bb.41:
	global_load_u16 v34, v[105:106], off
.LBB0_42:
	.loc	1 0 20 is_stmt 0                ; matmul.py:0:20
	s_or_b32 exec_lo, exec_lo, s5
	.loc	1 22 68 is_stmt 1               ; matmul.py:22:68
	v_mul_lo_u32 v2, v4, s4
	s_abs_i32 s6, s21
	s_delay_alu instid0(VALU_DEP_1) | instskip(NEXT) | instid1(VALU_DEP_1)
	v_sub_nc_u32_e32 v2, v36, v2
	v_subrev_nc_u32_e32 v4, s4, v2
	v_cmp_le_u32_e32 vcc_lo, s4, v2
	s_delay_alu instid0(VALU_DEP_2) | instskip(NEXT) | instid1(VALU_DEP_1)
	v_cndmask_b32_e32 v2, v2, v4, vcc_lo
	v_subrev_nc_u32_e32 v4, s4, v2
	v_cmp_le_u32_e32 vcc_lo, s4, v2
	s_delay_alu instid0(VALU_DEP_2) | instskip(SKIP_1) | instid1(VALU_DEP_2)
	v_cndmask_b32_e32 v2, v2, v4, vcc_lo
	.loc	1 0 0 is_stmt 0                 ; matmul.py:0
	v_add_nc_u32_e32 v4, 0x68, v31
	.loc	1 22 68                         ; matmul.py:22:68
	v_xor_b32_e32 v2, v2, v22
	s_delay_alu instid0(VALU_DEP_1) | instskip(NEXT) | instid1(VALU_DEP_1)
	v_sub_nc_u32_e32 v2, v2, v22
	.loc	1 25 53 is_stmt 1               ; matmul.py:25:53
	v_mad_u64_u32 v[38:39], null, v2, s23, v[1:2]
	s_delay_alu instid0(VALU_DEP_1) | instskip(NEXT) | instid1(VALU_DEP_1)
	.loc	1 25 22 is_stmt 0               ; matmul.py:25:22
	v_ashrrev_i32_e32 v39, 31, v38
	v_lshlrev_b64 v[39:40], 1, v[38:39]
	.loc	1 0 0                           ; matmul.py:0
	v_xor_b32_e32 v38, v5, v22
	v_mad_u64_u32 v[5:6], null, v35, v26, 0
	s_delay_alu instid0(VALU_DEP_3) | instskip(NEXT) | instid1(VALU_DEP_1)
	.loc	1 25 22                         ; matmul.py:25:22
	v_add_co_u32 v107, vcc_lo, s12, v39
	v_add_co_ci_u32_e64 v108, null, s13, v40, vcc_lo
	scratch_store_b64 off, v[39:40], off offset:168 ; 8-byte Folded Spill
	.loc	1 30 20 is_stmt 1               ; matmul.py:30:20
	s_and_saveexec_b32 s5, s2
	s_cbranch_execz .LBB0_44
; %bb.43:
	global_load_u16 v8, v[107:108], off
.LBB0_44:
	.loc	1 0 20 is_stmt 0                ; matmul.py:0:20
	s_or_b32 exec_lo, exec_lo, s5
	.loc	1 22 68 is_stmt 1               ; matmul.py:22:68
	v_mul_lo_u32 v2, v7, s4
	v_cvt_f32_u32_e32 v7, s6
	v_mov_b32_e32 v36, 0
	s_delay_alu instid0(VALU_DEP_3) | instskip(SKIP_1) | instid1(VALU_DEP_2)
	v_sub_nc_u32_e32 v2, v33, v2
	v_mov_b32_e32 v33, 0
	v_subrev_nc_u32_e32 v5, s4, v2
	v_cmp_le_u32_e32 vcc_lo, s4, v2
	s_delay_alu instid0(VALU_DEP_2) | instskip(NEXT) | instid1(VALU_DEP_1)
	v_cndmask_b32_e32 v2, v2, v5, vcc_lo
	v_subrev_nc_u32_e32 v5, s4, v2
	v_cmp_le_u32_e32 vcc_lo, s4, v2
	s_delay_alu instid0(VALU_DEP_2) | instskip(NEXT) | instid1(VALU_DEP_1)
	v_cndmask_b32_e32 v2, v2, v5, vcc_lo
	v_xor_b32_e32 v2, v2, v22
	s_delay_alu instid0(VALU_DEP_1) | instskip(NEXT) | instid1(VALU_DEP_1)
	v_sub_nc_u32_e32 v2, v2, v22
	.loc	1 25 53                         ; matmul.py:25:53
	v_mad_u64_u32 v[39:40], null, v2, s23, v[1:2]
	.loc	1 0 0 is_stmt 0                 ; matmul.py:0
	v_add_nc_u32_e32 v2, 0x6c, v31
	s_delay_alu instid0(VALU_DEP_2) | instskip(NEXT) | instid1(VALU_DEP_1)
	.loc	1 25 22                         ; matmul.py:25:22
	v_ashrrev_i32_e32 v40, 31, v39
	v_lshlrev_b64 v[41:42], 1, v[39:40]
	.loc	1 0 0                           ; matmul.py:0
	v_xor_b32_e32 v40, v4, v22
	v_mad_u64_u32 v[4:5], null, v38, v26, 0
	s_delay_alu instid0(VALU_DEP_3) | instskip(NEXT) | instid1(VALU_DEP_1)
	.loc	1 25 22                         ; matmul.py:25:22
	v_add_co_u32 v109, vcc_lo, s12, v41
	v_add_co_ci_u32_e64 v110, null, s13, v42, vcc_lo
	scratch_store_b64 off, v[41:42], off offset:176 ; 8-byte Folded Spill
	.loc	1 30 20 is_stmt 1               ; matmul.py:30:20
	s_and_saveexec_b32 s5, s2
	s_cbranch_execz .LBB0_46
; %bb.45:
	global_load_u16 v36, v[109:110], off
.LBB0_46:
	.loc	1 0 20 is_stmt 0                ; matmul.py:0:20
	s_or_b32 exec_lo, exec_lo, s5
	.loc	1 22 68 is_stmt 1               ; matmul.py:22:68
	v_mul_lo_u32 v3, v3, s4
	v_rcp_iflag_f32_e32 v39, v7
	.loc	1 0 0 is_stmt 0                 ; matmul.py:0
	v_xor_b32_e32 v7, v2, v22
	s_delay_alu instid0(VALU_DEP_2) | instskip(NEXT) | instid1(VALU_DEP_1)
	.loc	1 22 68                         ; matmul.py:22:68
	v_sub_nc_u32_e32 v3, v37, v3
	v_subrev_nc_u32_e32 v4, s4, v3
	v_cmp_le_u32_e32 vcc_lo, s4, v3
	s_delay_alu instid0(VALU_DEP_2) | instskip(NEXT) | instid1(VALU_DEP_1)
	v_cndmask_b32_e32 v3, v3, v4, vcc_lo
	v_subrev_nc_u32_e32 v4, s4, v3
	v_cmp_le_u32_e32 vcc_lo, s4, v3
	s_delay_alu instid0(VALU_DEP_2) | instskip(NEXT) | instid1(VALU_DEP_1)
	v_cndmask_b32_e32 v3, v3, v4, vcc_lo
	v_xor_b32_e32 v3, v3, v22
	s_delay_alu instid0(VALU_DEP_1) | instskip(NEXT) | instid1(VALU_DEP_1)
	v_sub_nc_u32_e32 v37, v3, v22
	.loc	1 25 53 is_stmt 1               ; matmul.py:25:53
	v_mad_u64_u32 v[3:4], null, v37, s23, v[1:2]
	.loc	1 0 0 is_stmt 0                 ; matmul.py:0
	v_add_nc_u32_e32 v37, 0x70, v31
	s_delay_alu instid0(VALU_DEP_2) | instskip(NEXT) | instid1(VALU_DEP_1)
	.loc	1 25 22                         ; matmul.py:25:22
	v_ashrrev_i32_e32 v4, 31, v3
	v_lshlrev_b64 v[41:42], 1, v[3:4]
	.loc	1 0 0                           ; matmul.py:0
	v_mad_u64_u32 v[3:4], null, v40, v26, 0
	s_delay_alu instid0(VALU_DEP_2) | instskip(NEXT) | instid1(VALU_DEP_1)
	.loc	1 25 22                         ; matmul.py:25:22
	v_add_co_u32 v111, vcc_lo, s12, v41
	v_add_co_ci_u32_e64 v112, null, s13, v42, vcc_lo
	scratch_store_b64 off, v[41:42], off offset:184 ; 8-byte Folded Spill
	.loc	1 30 20 is_stmt 1               ; matmul.py:30:20
	s_and_saveexec_b32 s5, s2
	s_cbranch_execz .LBB0_48
; %bb.47:
	global_load_u16 v33, v[111:112], off
.LBB0_48:
	.loc	1 0 20 is_stmt 0                ; matmul.py:0:20
	s_or_b32 exec_lo, exec_lo, s5
	.loc	1 22 68 is_stmt 1               ; matmul.py:22:68
	v_mul_lo_u32 v2, v6, s4
	v_mul_f32_e32 v41, 0x4f7ffffe, v39
	.loc	1 0 0 is_stmt 0                 ; matmul.py:0
	v_xor_b32_e32 v39, v37, v22
	v_mov_b32_e32 v37, 0
	s_delay_alu instid0(VALU_DEP_4) | instskip(SKIP_1) | instid1(VALU_DEP_2)
	.loc	1 22 68                         ; matmul.py:22:68
	v_sub_nc_u32_e32 v2, v35, v2
	v_mov_b32_e32 v35, 0
	v_subrev_nc_u32_e32 v3, s4, v2
	v_cmp_le_u32_e32 vcc_lo, s4, v2
	s_delay_alu instid0(VALU_DEP_2) | instskip(NEXT) | instid1(VALU_DEP_1)
	v_cndmask_b32_e32 v2, v2, v3, vcc_lo
	v_subrev_nc_u32_e32 v3, s4, v2
	v_cmp_le_u32_e32 vcc_lo, s4, v2
	s_delay_alu instid0(VALU_DEP_2) | instskip(NEXT) | instid1(VALU_DEP_1)
	v_cndmask_b32_e32 v2, v2, v3, vcc_lo
	v_xor_b32_e32 v2, v2, v22
	s_delay_alu instid0(VALU_DEP_1) | instskip(NEXT) | instid1(VALU_DEP_1)
	v_sub_nc_u32_e32 v6, v2, v22
	.loc	1 25 53 is_stmt 1               ; matmul.py:25:53
	v_mad_u64_u32 v[2:3], null, v6, s23, v[1:2]
	.loc	1 0 0 is_stmt 0                 ; matmul.py:0
	v_add_nc_u32_e32 v6, 0x74, v31
	s_delay_alu instid0(VALU_DEP_2) | instskip(NEXT) | instid1(VALU_DEP_1)
	.loc	1 25 22                         ; matmul.py:25:22
	v_ashrrev_i32_e32 v3, 31, v2
	v_lshlrev_b64 v[42:43], 1, v[2:3]
	.loc	1 0 0                           ; matmul.py:0
	v_mad_u64_u32 v[2:3], null, v7, v26, 0
	s_delay_alu instid0(VALU_DEP_2) | instskip(NEXT) | instid1(VALU_DEP_1)
	.loc	1 25 22                         ; matmul.py:25:22
	v_add_co_u32 v113, vcc_lo, s12, v42
	v_add_co_ci_u32_e64 v114, null, s13, v43, vcc_lo
	scratch_store_b64 off, v[42:43], off offset:192 ; 8-byte Folded Spill
	.loc	1 30 20 is_stmt 1               ; matmul.py:30:20
	s_and_saveexec_b32 s5, s2
	s_cbranch_execz .LBB0_50
; %bb.49:
	global_load_u16 v37, v[113:114], off
.LBB0_50:
	.loc	1 0 20 is_stmt 0                ; matmul.py:0:20
	s_or_b32 exec_lo, exec_lo, s5
	.loc	1 22 68 is_stmt 1               ; matmul.py:22:68
	v_mul_lo_u32 v2, v5, s4
	v_cvt_u32_f32_e32 v44, v41
	.loc	1 0 0 is_stmt 0                 ; matmul.py:0
	v_xor_b32_e32 v41, v6, v22
	s_sub_i32 s5, 0, s6
	v_lshlrev_b32_e32 v45, 6, v30
	s_delay_alu instid0(VALU_DEP_4) | instskip(SKIP_1) | instid1(VALU_DEP_2)
	.loc	1 22 68                         ; matmul.py:22:68
	v_sub_nc_u32_e32 v2, v38, v2
	v_and_b32_e32 v38, 63, v0
	v_subrev_nc_u32_e32 v5, s4, v2
	v_cmp_le_u32_e32 vcc_lo, s4, v2
	s_delay_alu instid0(VALU_DEP_2) | instskip(NEXT) | instid1(VALU_DEP_1)
	v_cndmask_b32_e32 v2, v2, v5, vcc_lo
	v_subrev_nc_u32_e32 v5, s4, v2
	v_cmp_le_u32_e32 vcc_lo, s4, v2
	s_delay_alu instid0(VALU_DEP_2) | instskip(SKIP_1) | instid1(VALU_DEP_2)
	v_cndmask_b32_e32 v2, v2, v5, vcc_lo
	.loc	1 0 0                           ; matmul.py:0
	v_mad_u64_u32 v[5:6], null, v39, v26, 0
	.loc	1 22 68                         ; matmul.py:22:68
	v_xor_b32_e32 v2, v2, v22
	s_delay_alu instid0(VALU_DEP_1) | instskip(NEXT) | instid1(VALU_DEP_1)
	v_sub_nc_u32_e32 v2, v2, v22
	.loc	1 25 53 is_stmt 1               ; matmul.py:25:53
	v_mad_u64_u32 v[42:43], null, v2, s23, v[1:2]
	s_delay_alu instid0(VALU_DEP_1) | instskip(NEXT) | instid1(VALU_DEP_1)
	.loc	1 25 22 is_stmt 0               ; matmul.py:25:22
	v_ashrrev_i32_e32 v43, 31, v42
	v_lshlrev_b64 v[46:47], 1, v[42:43]
	.loc	1 0 0                           ; matmul.py:0
	v_add_nc_u32_e32 v42, 0x78, v31
	s_delay_alu instid0(VALU_DEP_2) | instskip(NEXT) | instid1(VALU_DEP_1)
	.loc	1 25 22                         ; matmul.py:25:22
	v_add_co_u32 v115, vcc_lo, s12, v46
	v_add_co_ci_u32_e64 v116, null, s13, v47, vcc_lo
	scratch_store_b64 off, v[46:47], off offset:200 ; 8-byte Folded Spill
	.loc	1 30 20 is_stmt 1               ; matmul.py:30:20
	s_and_saveexec_b32 s7, s2
	s_cbranch_execz .LBB0_52
; %bb.51:
	global_load_u16 v35, v[115:116], off
.LBB0_52:
	.loc	1 0 20 is_stmt 0                ; matmul.py:0:20
	s_or_b32 exec_lo, exec_lo, s7
	.loc	1 22 68 is_stmt 1               ; matmul.py:22:68
	v_mul_lo_u32 v2, v4, s4
	.loc	1 0 0 is_stmt 0                 ; matmul.py:0
	v_mul_lo_u32 v43, s5, v44
	v_xor_b32_e32 v42, v42, v22
	s_delay_alu instid0(VALU_DEP_3) | instskip(SKIP_2) | instid1(VALU_DEP_3)
	.loc	1 22 68                         ; matmul.py:22:68
	v_sub_nc_u32_e32 v2, v40, v2
	.loc	1 0 0                           ; matmul.py:0
	v_bfe_i32 v40, v30, 25, 1
	v_mov_b32_e32 v30, 0
	.loc	1 22 68                         ; matmul.py:22:68
	v_subrev_nc_u32_e32 v4, s4, v2
	v_cmp_le_u32_e32 vcc_lo, s4, v2
	s_delay_alu instid0(VALU_DEP_2) | instskip(NEXT) | instid1(VALU_DEP_1)
	v_cndmask_b32_e32 v2, v2, v4, vcc_lo
	v_subrev_nc_u32_e32 v4, s4, v2
	v_cmp_le_u32_e32 vcc_lo, s4, v2
	s_delay_alu instid0(VALU_DEP_2) | instskip(NEXT) | instid1(VALU_DEP_1)
	v_cndmask_b32_e32 v2, v2, v4, vcc_lo
	v_xor_b32_e32 v2, v2, v22
	s_delay_alu instid0(VALU_DEP_1) | instskip(NEXT) | instid1(VALU_DEP_1)
	v_sub_nc_u32_e32 v2, v2, v22
	.loc	1 25 53 is_stmt 1               ; matmul.py:25:53
	v_mad_u64_u32 v[4:5], null, v2, s23, v[1:2]
	v_dual_mov_b32 v31, 0 :: v_dual_add_nc_u32 v2, 0x7c, v31
	s_delay_alu instid0(VALU_DEP_2) | instskip(NEXT) | instid1(VALU_DEP_1)
	.loc	1 25 22 is_stmt 0               ; matmul.py:25:22
	v_ashrrev_i32_e32 v5, 31, v4
	v_lshlrev_b64 v[46:47], 1, v[4:5]
	.loc	1 0 0                           ; matmul.py:0
	v_mad_u64_u32 v[4:5], null, v41, v26, 0
	scratch_store_b32 off, v45, off offset:244 ; 4-byte Folded Spill
	v_or_b32_e32 v45, v45, v38
	.loc	1 25 22                         ; matmul.py:25:22
	v_add_co_u32 v117, vcc_lo, s12, v46
	s_delay_alu instid0(VALU_DEP_1)
	v_add_co_ci_u32_e64 v118, null, s13, v47, vcc_lo
	scratch_store_b64 off, v[46:47], off offset:208 ; 8-byte Folded Spill
	.loc	1 30 20 is_stmt 1               ; matmul.py:30:20
	s_and_saveexec_b32 s5, s2
	s_cbranch_execz .LBB0_54
; %bb.53:
	global_load_u16 v31, v[117:118], off
.LBB0_54:
	.loc	1 0 20 is_stmt 0                ; matmul.py:0:20
	s_or_b32 exec_lo, exec_lo, s5
	.loc	1 22 68 is_stmt 1               ; matmul.py:22:68
	v_mul_lo_u32 v3, v3, s4
	s_delay_alu instid0(VALU_DEP_1) | instskip(SKIP_2) | instid1(VALU_DEP_3)
	v_sub_nc_u32_e32 v3, v7, v3
	.loc	1 0 0 is_stmt 0                 ; matmul.py:0
	v_mul_hi_u32 v7, v44, v43
	v_xor_b32_e32 v43, v2, v22
	.loc	1 22 68                         ; matmul.py:22:68
	v_subrev_nc_u32_e32 v4, s4, v3
	v_cmp_le_u32_e32 vcc_lo, s4, v3
	s_delay_alu instid0(VALU_DEP_2) | instskip(NEXT) | instid1(VALU_DEP_1)
	v_cndmask_b32_e32 v3, v3, v4, vcc_lo
	v_subrev_nc_u32_e32 v4, s4, v3
	v_cmp_le_u32_e32 vcc_lo, s4, v3
	s_delay_alu instid0(VALU_DEP_2) | instskip(SKIP_1) | instid1(VALU_DEP_2)
	v_cndmask_b32_e32 v3, v3, v4, vcc_lo
	.loc	1 0 0                           ; matmul.py:0
	v_add_nc_u32_e32 v4, v45, v40
	.loc	1 22 68                         ; matmul.py:22:68
	v_xor_b32_e32 v3, v3, v22
	s_delay_alu instid0(VALU_DEP_1) | instskip(NEXT) | instid1(VALU_DEP_1)
	v_sub_nc_u32_e32 v3, v3, v22
	.loc	1 25 53 is_stmt 1               ; matmul.py:25:53
	v_mad_u64_u32 v[46:47], null, v3, s23, v[1:2]
	.loc	1 0 0 is_stmt 0                 ; matmul.py:0
	v_mad_u64_u32 v[2:3], null, v42, v26, 0
	s_delay_alu instid0(VALU_DEP_2) | instskip(NEXT) | instid1(VALU_DEP_1)
	.loc	1 25 22                         ; matmul.py:25:22
	v_ashrrev_i32_e32 v47, 31, v46
	v_lshlrev_b64 v[45:46], 1, v[46:47]
	s_delay_alu instid0(VALU_DEP_1) | instskip(NEXT) | instid1(VALU_DEP_1)
	v_add_co_u32 v119, vcc_lo, s12, v45
	v_add_co_ci_u32_e64 v120, null, s13, v46, vcc_lo
	scratch_store_b64 off, v[45:46], off offset:216 ; 8-byte Folded Spill
	.loc	1 30 20 is_stmt 1               ; matmul.py:30:20
	s_and_saveexec_b32 s5, s2
	s_cbranch_execz .LBB0_56
; %bb.55:
	global_load_u16 v30, v[119:120], off
.LBB0_56:
	.loc	1 0 20 is_stmt 0                ; matmul.py:0:20
	s_or_b32 exec_lo, exec_lo, s5
	.loc	1 22 68 is_stmt 1               ; matmul.py:22:68
	v_mul_lo_u32 v2, v6, s4
	s_delay_alu instid0(VALU_DEP_1) | instskip(SKIP_1) | instid1(VALU_DEP_2)
	v_sub_nc_u32_e32 v2, v39, v2
	.loc	1 0 0 is_stmt 0                 ; matmul.py:0
	v_add_nc_u32_e32 v39, v44, v7
	.loc	1 22 68                         ; matmul.py:22:68
	v_subrev_nc_u32_e32 v6, s4, v2
	v_cmp_le_u32_e32 vcc_lo, s4, v2
	s_delay_alu instid0(VALU_DEP_2) | instskip(NEXT) | instid1(VALU_DEP_1)
	v_cndmask_b32_e32 v2, v2, v6, vcc_lo
	v_subrev_nc_u32_e32 v6, s4, v2
	v_cmp_le_u32_e32 vcc_lo, s4, v2
	s_delay_alu instid0(VALU_DEP_2) | instskip(SKIP_3) | instid1(VALU_DEP_4)
	v_cndmask_b32_e32 v2, v2, v6, vcc_lo
	.loc	1 0 0                           ; matmul.py:0
	v_mad_u64_u32 v[6:7], null, v43, v26, 0
	v_mov_b32_e32 v6, 0
	v_mov_b32_e32 v26, 0
	.loc	1 22 68                         ; matmul.py:22:68
	v_xor_b32_e32 v2, v2, v22
	s_delay_alu instid0(VALU_DEP_1) | instskip(NEXT) | instid1(VALU_DEP_1)
	v_sub_nc_u32_e32 v2, v2, v22
	.loc	1 25 53 is_stmt 1               ; matmul.py:25:53
	v_mad_u64_u32 v[45:46], null, v2, s23, v[1:2]
	.loc	1 0 0 is_stmt 0                 ; matmul.py:0
	v_xor_b32_e32 v2, v4, v40
	s_delay_alu instid0(VALU_DEP_2) | instskip(NEXT) | instid1(VALU_DEP_1)
	.loc	1 25 22                         ; matmul.py:25:22
	v_ashrrev_i32_e32 v46, 31, v45
	v_lshlrev_b64 v[45:46], 1, v[45:46]
	s_delay_alu instid0(VALU_DEP_1) | instskip(NEXT) | instid1(VALU_DEP_1)
	v_add_co_u32 v121, vcc_lo, s12, v45
	v_add_co_ci_u32_e64 v122, null, s13, v46, vcc_lo
	scratch_store_b64 off, v[45:46], off offset:224 ; 8-byte Folded Spill
	.loc	1 30 20 is_stmt 1               ; matmul.py:30:20
	s_and_saveexec_b32 s5, s2
	s_cbranch_execz .LBB0_58
; %bb.57:
	global_load_u16 v26, v[121:122], off
.LBB0_58:
	.loc	1 0 20 is_stmt 0                ; matmul.py:0:20
	s_or_b32 exec_lo, exec_lo, s5
	.loc	1 22 68 is_stmt 1               ; matmul.py:22:68
	v_mul_lo_u32 v4, v5, s4
	s_delay_alu instid0(VALU_DEP_1) | instskip(NEXT) | instid1(VALU_DEP_1)
	v_sub_nc_u32_e32 v4, v41, v4
	v_subrev_nc_u32_e32 v5, s4, v4
	v_cmp_le_u32_e32 vcc_lo, s4, v4
	s_delay_alu instid0(VALU_DEP_2) | instskip(NEXT) | instid1(VALU_DEP_1)
	v_cndmask_b32_e32 v4, v4, v5, vcc_lo
	v_subrev_nc_u32_e32 v5, s4, v4
	v_cmp_le_u32_e32 vcc_lo, s4, v4
	s_delay_alu instid0(VALU_DEP_2) | instskip(NEXT) | instid1(VALU_DEP_1)
	v_cndmask_b32_e32 v4, v4, v5, vcc_lo
	v_xor_b32_e32 v4, v4, v22
	s_delay_alu instid0(VALU_DEP_1) | instskip(NEXT) | instid1(VALU_DEP_1)
	v_sub_nc_u32_e32 v41, v4, v22
	.loc	1 25 53                         ; matmul.py:25:53
	v_mad_u64_u32 v[4:5], null, v41, s23, v[1:2]
	s_delay_alu instid0(VALU_DEP_1) | instskip(NEXT) | instid1(VALU_DEP_1)
	.loc	1 25 22 is_stmt 0               ; matmul.py:25:22
	v_ashrrev_i32_e32 v5, 31, v4
	v_lshlrev_b64 v[44:45], 1, v[4:5]
	.loc	1 0 0                           ; matmul.py:0
	v_mad_u64_u32 v[4:5], null, v2, v39, 0
	s_delay_alu instid0(VALU_DEP_2) | instskip(NEXT) | instid1(VALU_DEP_1)
	.loc	1 25 22                         ; matmul.py:25:22
	v_add_co_u32 v125, vcc_lo, s12, v44
	v_add_co_ci_u32_e64 v126, null, s13, v45, vcc_lo
	scratch_store_b64 off, v[44:45], off offset:232 ; 8-byte Folded Spill
	.loc	1 30 20 is_stmt 1               ; matmul.py:30:20
	s_and_saveexec_b32 s5, s2
	s_cbranch_execz .LBB0_60
; %bb.59:
	global_load_u16 v6, v[125:126], off
.LBB0_60:
	.loc	1 0 20 is_stmt 0                ; matmul.py:0:20
	s_or_b32 exec_lo, exec_lo, s5
	.loc	1 22 68 is_stmt 1               ; matmul.py:22:68
	v_mul_lo_u32 v3, v3, s4
	s_load_b64 s[14:15], s[0:1], 0x8
	s_delay_alu instid0(VALU_DEP_1) | instskip(NEXT) | instid1(VALU_DEP_1)
	v_sub_nc_u32_e32 v3, v42, v3
	v_subrev_nc_u32_e32 v4, s4, v3
	v_cmp_le_u32_e32 vcc_lo, s4, v3
	s_delay_alu instid0(VALU_DEP_2) | instskip(NEXT) | instid1(VALU_DEP_1)
	v_cndmask_b32_e32 v3, v3, v4, vcc_lo
	v_subrev_nc_u32_e32 v4, s4, v3
	v_cmp_le_u32_e32 vcc_lo, s4, v3
	s_delay_alu instid0(VALU_DEP_2) | instskip(NEXT) | instid1(VALU_DEP_1)
	v_cndmask_b32_e32 v3, v3, v4, vcc_lo
	v_xor_b32_e32 v3, v3, v22
	s_delay_alu instid0(VALU_DEP_1) | instskip(NEXT) | instid1(VALU_DEP_1)
	v_sub_nc_u32_e32 v39, v3, v22
	.loc	1 25 53                         ; matmul.py:25:53
	v_mad_u64_u32 v[3:4], null, v39, s23, v[1:2]
	v_mov_b32_e32 v39, 0
	s_delay_alu instid0(VALU_DEP_2) | instskip(NEXT) | instid1(VALU_DEP_1)
	.loc	1 25 22 is_stmt 0               ; matmul.py:25:22
	v_ashrrev_i32_e32 v4, 31, v3
	v_lshlrev_b64 v[189:190], 1, v[3:4]
	v_mov_b32_e32 v3, 0
	s_delay_alu instid0(VALU_DEP_2) | instskip(NEXT) | instid1(VALU_DEP_1)
	v_add_co_u32 v227, vcc_lo, s12, v189
	v_add_co_ci_u32_e64 v228, null, s13, v190, vcc_lo
	.loc	1 30 20 is_stmt 1               ; matmul.py:30:20
	s_and_saveexec_b32 s5, s2
	s_cbranch_execz .LBB0_62
; %bb.61:
	global_load_u16 v39, v[227:228], off
.LBB0_62:
	.loc	1 0 20 is_stmt 0                ; matmul.py:0:20
	s_or_b32 exec_lo, exec_lo, s5
	.loc	1 22 68 is_stmt 1               ; matmul.py:22:68
	v_mul_lo_u32 v4, v7, s4
	s_delay_alu instid0(VALU_DEP_1) | instskip(NEXT) | instid1(VALU_DEP_1)
	v_sub_nc_u32_e32 v4, v43, v4
	v_subrev_nc_u32_e32 v7, s4, v4
	v_cmp_le_u32_e32 vcc_lo, s4, v4
	s_delay_alu instid0(VALU_DEP_2) | instskip(NEXT) | instid1(VALU_DEP_1)
	v_cndmask_b32_e32 v4, v4, v7, vcc_lo
	v_subrev_nc_u32_e32 v7, s4, v4
	v_cmp_le_u32_e32 vcc_lo, s4, v4
	s_load_b64 s[4:5], s[0:1], 0x2c
	s_delay_alu instid0(VALU_DEP_2) | instskip(NEXT) | instid1(VALU_DEP_1)
	v_cndmask_b32_e32 v4, v4, v7, vcc_lo
	v_xor_b32_e32 v4, v4, v22
	s_delay_alu instid0(VALU_DEP_1) | instskip(NEXT) | instid1(VALU_DEP_1)
	v_sub_nc_u32_e32 v4, v4, v22
	.loc	1 25 53                         ; matmul.py:25:53
	v_mad_u64_u32 v[41:42], null, v4, s23, v[1:2]
	s_delay_alu instid0(VALU_DEP_1) | instskip(NEXT) | instid1(VALU_DEP_1)
	.loc	1 25 22 is_stmt 0               ; matmul.py:25:22
	v_ashrrev_i32_e32 v42, 31, v41
	v_lshlrev_b64 v[191:192], 1, v[41:42]
	s_delay_alu instid0(VALU_DEP_1) | instskip(NEXT) | instid1(VALU_DEP_1)
	v_add_co_u32 v233, vcc_lo, s12, v191
	v_add_co_ci_u32_e64 v234, null, s13, v192, vcc_lo
	.loc	1 30 20 is_stmt 1               ; matmul.py:30:20
	s_and_saveexec_b32 s7, s2
	s_cbranch_execz .LBB0_64
; %bb.63:
	global_load_u16 v3, v[233:234], off
.LBB0_64:
	.loc	1 0 20 is_stmt 0                ; matmul.py:0:20
	s_or_b32 exec_lo, exec_lo, s7
	.loc	1 23 68 is_stmt 1               ; matmul.py:23:68
	v_mul_lo_u32 v1, v5, s6
	.loc	1 26 29                         ; matmul.py:26:29
	v_lshrrev_b32_e32 v255, 6, v0
	.loc	1 26 40 is_stmt 0               ; matmul.py:26:40
	s_waitcnt lgkmcnt(0)
	s_delay_alu instid0(VALU_DEP_1) | instskip(NEXT) | instid1(VALU_DEP_3)
	v_mul_lo_u32 v4, s4, v255
	.loc	1 23 68 is_stmt 1               ; matmul.py:23:68
	v_sub_nc_u32_e32 v1, v2, v1
	s_delay_alu instid0(VALU_DEP_1) | instskip(SKIP_1) | instid1(VALU_DEP_2)
	v_subrev_nc_u32_e32 v2, s6, v1
	v_cmp_le_u32_e32 vcc_lo, s6, v1
	v_cndmask_b32_e32 v1, v1, v2, vcc_lo
	s_delay_alu instid0(VALU_DEP_1) | instskip(SKIP_1) | instid1(VALU_DEP_2)
	v_subrev_nc_u32_e32 v2, s6, v1
	v_cmp_le_u32_e32 vcc_lo, s6, v1
	v_cndmask_b32_e32 v1, v1, v2, vcc_lo
	.loc	1 31 51                         ; matmul.py:31:51
	v_cmp_gt_i32_e32 vcc_lo, s22, v255
	s_delay_alu instid0(VALU_DEP_2) | instskip(NEXT) | instid1(VALU_DEP_1)
	.loc	1 23 68                         ; matmul.py:23:68
	v_xor_b32_e32 v1, v1, v40
	v_sub_nc_u32_e32 v5, v1, v40
	s_delay_alu instid0(VALU_DEP_1) | instskip(SKIP_2) | instid1(VALU_DEP_2)
	.loc	1 26 52                         ; matmul.py:26:52
	v_mad_u64_u32 v[1:2], null, v5, s5, v[4:5]
	v_mov_b32_e32 v4, 0
	.loc	1 29 22                         ; matmul.py:29:22
	s_and_b32 s5, vcc_lo, s24
	.loc	1 26 22                         ; matmul.py:26:22
	v_ashrrev_i32_e32 v2, 31, v1
	s_delay_alu instid0(VALU_DEP_1) | instskip(SKIP_1) | instid1(VALU_DEP_2)
	v_lshlrev_b64 v[193:194], 1, v[1:2]
	v_mov_b32_e32 v2, 0
	v_add_co_u32 v123, s2, s14, v193
	s_delay_alu instid0(VALU_DEP_1)
	v_add_co_ci_u32_e64 v124, null, s15, v194, s2
	.loc	1 31 20                         ; matmul.py:31:20
	s_and_saveexec_b32 s2, s5
	s_cbranch_execz .LBB0_66
; %bb.65:
	global_load_u16 v4, v[123:124], off
.LBB0_66:
	.loc	1 0 20 is_stmt 0                ; matmul.py:0:20
	s_or_b32 exec_lo, exec_lo, s2
	.loc	1 26 52 is_stmt 1               ; matmul.py:26:52
	v_lshl_add_u32 v40, s4, 1, v1
	.loc	1 26 29 is_stmt 0               ; matmul.py:26:29
	v_or_b32_e32 v5, 2, v255
	s_delay_alu instid0(VALU_DEP_2) | instskip(NEXT) | instid1(VALU_DEP_2)
	.loc	1 26 22                         ; matmul.py:26:22
	v_ashrrev_i32_e32 v41, 31, v40
	.loc	1 31 51 is_stmt 1               ; matmul.py:31:51
	v_cmp_gt_i32_e32 vcc_lo, s22, v5
	s_delay_alu instid0(VALU_DEP_2) | instskip(SKIP_1) | instid1(VALU_DEP_1)
	.loc	1 26 22                         ; matmul.py:26:22
	v_lshlrev_b64 v[195:196], 1, v[40:41]
	.loc	1 29 22                         ; matmul.py:29:22
	s_and_b32 s5, vcc_lo, s24
	.loc	1 26 22                         ; matmul.py:26:22
	v_add_co_u32 v127, s2, s14, v195
	s_delay_alu instid0(VALU_DEP_1)
	v_add_co_ci_u32_e64 v128, null, s15, v196, s2
	.loc	1 31 20                         ; matmul.py:31:20
	s_and_saveexec_b32 s2, s5
	s_cbranch_execz .LBB0_68
; %bb.67:
	global_load_u16 v2, v[127:128], off
.LBB0_68:
	.loc	1 0 20 is_stmt 0                ; matmul.py:0:20
	s_or_b32 exec_lo, exec_lo, s2
	.loc	1 26 52 is_stmt 1               ; matmul.py:26:52
	v_lshl_add_u32 v40, s4, 2, v1
	.loc	1 26 29 is_stmt 0               ; matmul.py:26:29
	v_or_b32_e32 v7, 4, v255
	v_mov_b32_e32 v5, 0
	s_delay_alu instid0(VALU_DEP_3) | instskip(NEXT) | instid1(VALU_DEP_3)
	.loc	1 26 22                         ; matmul.py:26:22
	v_ashrrev_i32_e32 v41, 31, v40
	.loc	1 31 51 is_stmt 1               ; matmul.py:31:51
	v_cmp_gt_i32_e32 vcc_lo, s22, v7
	v_mov_b32_e32 v7, 0
	s_delay_alu instid0(VALU_DEP_3) | instskip(SKIP_1) | instid1(VALU_DEP_1)
	.loc	1 26 22                         ; matmul.py:26:22
	v_lshlrev_b64 v[197:198], 1, v[40:41]
	.loc	1 29 22                         ; matmul.py:29:22
	s_and_b32 s5, vcc_lo, s24
	.loc	1 26 22                         ; matmul.py:26:22
	v_add_co_u32 v225, s2, s14, v197
	s_delay_alu instid0(VALU_DEP_1)
	v_add_co_ci_u32_e64 v226, null, s15, v198, s2
	.loc	1 31 20                         ; matmul.py:31:20
	s_and_saveexec_b32 s2, s5
	s_cbranch_execz .LBB0_70
; %bb.69:
	global_load_u16 v7, v[225:226], off
.LBB0_70:
	.loc	1 0 20 is_stmt 0                ; matmul.py:0:20
	s_or_b32 exec_lo, exec_lo, s2
	.loc	1 26 52 is_stmt 1               ; matmul.py:26:52
	s_waitcnt vmcnt(0)
	v_mad_u64_u32 v[40:41], null, s4, 6, v[1:2]
	.loc	1 26 29 is_stmt 0               ; matmul.py:26:29
	v_or_b32_e32 v22, 6, v255
	s_delay_alu instid0(VALU_DEP_1) | instskip(NEXT) | instid1(VALU_DEP_3)
	.loc	1 31 51 is_stmt 1               ; matmul.py:31:51
	v_cmp_gt_i32_e32 vcc_lo, s22, v22
	.loc	1 26 22                         ; matmul.py:26:22
	v_ashrrev_i32_e32 v41, 31, v40
	.loc	1 29 22                         ; matmul.py:29:22
	s_and_b32 s5, vcc_lo, s24
	s_delay_alu instid0(VALU_DEP_1) | instskip(NEXT) | instid1(VALU_DEP_1)
	.loc	1 26 22                         ; matmul.py:26:22
	v_lshlrev_b64 v[199:200], 1, v[40:41]
	v_add_co_u32 v229, s2, s14, v199
	s_delay_alu instid0(VALU_DEP_1)
	v_add_co_ci_u32_e64 v230, null, s15, v200, s2
	.loc	1 31 20                         ; matmul.py:31:20
	s_and_saveexec_b32 s2, s5
	s_cbranch_execz .LBB0_72
; %bb.71:
	global_load_u16 v5, v[229:230], off
.LBB0_72:
	.loc	1 0 20 is_stmt 0                ; matmul.py:0:20
	s_or_b32 exec_lo, exec_lo, s2
	.loc	1 26 52 is_stmt 1               ; matmul.py:26:52
	v_lshl_add_u32 v40, s4, 3, v1
	.loc	1 26 29 is_stmt 0               ; matmul.py:26:29
	v_or_b32_e32 v42, 8, v255
	v_mov_b32_e32 v22, 0
	s_delay_alu instid0(VALU_DEP_3) | instskip(NEXT) | instid1(VALU_DEP_3)
	.loc	1 26 22                         ; matmul.py:26:22
	v_ashrrev_i32_e32 v41, 31, v40
	.loc	1 31 51 is_stmt 1               ; matmul.py:31:51
	v_cmp_gt_i32_e32 vcc_lo, s22, v42
	s_delay_alu instid0(VALU_DEP_2) | instskip(SKIP_2) | instid1(VALU_DEP_2)
	.loc	1 26 22                         ; matmul.py:26:22
	v_lshlrev_b64 v[201:202], 1, v[40:41]
	v_mov_b32_e32 v40, 0
	.loc	1 29 22                         ; matmul.py:29:22
	s_and_b32 s5, vcc_lo, s24
	.loc	1 26 22                         ; matmul.py:26:22
	v_add_co_u32 v231, s2, s14, v201
	s_delay_alu instid0(VALU_DEP_1)
	v_add_co_ci_u32_e64 v232, null, s15, v202, s2
	.loc	1 31 20                         ; matmul.py:31:20
	s_and_saveexec_b32 s2, s5
	s_cbranch_execz .LBB0_74
; %bb.73:
	global_load_u16 v40, v[231:232], off
.LBB0_74:
	.loc	1 0 20 is_stmt 0                ; matmul.py:0:20
	s_or_b32 exec_lo, exec_lo, s2
	.loc	1 26 52 is_stmt 1               ; matmul.py:26:52
	v_mad_u64_u32 v[41:42], null, s4, 10, v[1:2]
	.loc	1 26 29 is_stmt 0               ; matmul.py:26:29
	v_or_b32_e32 v43, 10, v255
	s_delay_alu instid0(VALU_DEP_1) | instskip(NEXT) | instid1(VALU_DEP_3)
	.loc	1 31 51 is_stmt 1               ; matmul.py:31:51
	v_cmp_gt_i32_e32 vcc_lo, s22, v43
	.loc	1 26 22                         ; matmul.py:26:22
	v_ashrrev_i32_e32 v42, 31, v41
	.loc	1 29 22                         ; matmul.py:29:22
	s_and_b32 s5, vcc_lo, s24
	s_delay_alu instid0(VALU_DEP_1) | instskip(NEXT) | instid1(VALU_DEP_1)
	.loc	1 26 22                         ; matmul.py:26:22
	v_lshlrev_b64 v[203:204], 1, v[41:42]
	v_add_co_u32 v235, s2, s14, v203
	s_delay_alu instid0(VALU_DEP_1)
	v_add_co_ci_u32_e64 v236, null, s15, v204, s2
	.loc	1 31 20                         ; matmul.py:31:20
	s_and_saveexec_b32 s2, s5
	s_cbranch_execz .LBB0_76
; %bb.75:
	global_load_u16 v22, v[235:236], off
.LBB0_76:
	.loc	1 0 20 is_stmt 0                ; matmul.py:0:20
	s_or_b32 exec_lo, exec_lo, s2
	.loc	1 26 52 is_stmt 1               ; matmul.py:26:52
	v_mad_u64_u32 v[41:42], null, s4, 12, v[1:2]
	.loc	1 26 29 is_stmt 0               ; matmul.py:26:29
	v_or_b32_e32 v43, 12, v255
	s_delay_alu instid0(VALU_DEP_1) | instskip(NEXT) | instid1(VALU_DEP_3)
	.loc	1 31 51 is_stmt 1               ; matmul.py:31:51
	v_cmp_gt_i32_e32 vcc_lo, s22, v43
	.loc	1 26 22                         ; matmul.py:26:22
	v_ashrrev_i32_e32 v42, 31, v41
	.loc	1 29 22                         ; matmul.py:29:22
	s_and_b32 s5, vcc_lo, s24
	s_delay_alu instid0(VALU_DEP_1) | instskip(SKIP_1) | instid1(VALU_DEP_2)
	.loc	1 26 22                         ; matmul.py:26:22
	v_lshlrev_b64 v[205:206], 1, v[41:42]
	v_dual_mov_b32 v41, 0 :: v_dual_mov_b32 v42, 0
	v_add_co_u32 v237, s2, s14, v205
	s_delay_alu instid0(VALU_DEP_1)
	v_add_co_ci_u32_e64 v238, null, s15, v206, s2
	.loc	1 31 20                         ; matmul.py:31:20
	s_and_saveexec_b32 s2, s5
	s_cbranch_execz .LBB0_78
; %bb.77:
	global_load_u16 v42, v[237:238], off
.LBB0_78:
	.loc	1 0 20 is_stmt 0                ; matmul.py:0:20
	s_or_b32 exec_lo, exec_lo, s2
	.loc	1 26 52 is_stmt 1               ; matmul.py:26:52
	v_mad_u64_u32 v[43:44], null, s4, 14, v[1:2]
	.loc	1 26 29 is_stmt 0               ; matmul.py:26:29
	v_or_b32_e32 v45, 14, v255
	s_delay_alu instid0(VALU_DEP_1) | instskip(NEXT) | instid1(VALU_DEP_3)
	.loc	1 31 51 is_stmt 1               ; matmul.py:31:51
	v_cmp_gt_i32_e32 vcc_lo, s22, v45
	.loc	1 26 22                         ; matmul.py:26:22
	v_ashrrev_i32_e32 v44, 31, v43
	.loc	1 29 22                         ; matmul.py:29:22
	s_and_b32 s5, vcc_lo, s24
	s_delay_alu instid0(VALU_DEP_1) | instskip(NEXT) | instid1(VALU_DEP_1)
	.loc	1 26 22                         ; matmul.py:26:22
	v_lshlrev_b64 v[207:208], 1, v[43:44]
	v_add_co_u32 v239, s2, s14, v207
	s_delay_alu instid0(VALU_DEP_1)
	v_add_co_ci_u32_e64 v240, null, s15, v208, s2
	.loc	1 31 20                         ; matmul.py:31:20
	s_and_saveexec_b32 s2, s5
	s_cbranch_execz .LBB0_80
; %bb.79:
	global_load_u16 v41, v[239:240], off
.LBB0_80:
	.loc	1 0 20 is_stmt 0                ; matmul.py:0:20
	s_or_b32 exec_lo, exec_lo, s2
	.loc	1 26 52 is_stmt 1               ; matmul.py:26:52
	v_lshl_add_u32 v43, s4, 4, v1
	.loc	1 26 29 is_stmt 0               ; matmul.py:26:29
	v_or_b32_e32 v45, 16, v255
	s_delay_alu instid0(VALU_DEP_2) | instskip(NEXT) | instid1(VALU_DEP_2)
	.loc	1 26 22                         ; matmul.py:26:22
	v_ashrrev_i32_e32 v44, 31, v43
	.loc	1 31 51 is_stmt 1               ; matmul.py:31:51
	v_cmp_gt_i32_e32 vcc_lo, s22, v45
	s_delay_alu instid0(VALU_DEP_2) | instskip(SKIP_2) | instid1(VALU_DEP_2)
	.loc	1 26 22                         ; matmul.py:26:22
	v_lshlrev_b64 v[209:210], 1, v[43:44]
	v_dual_mov_b32 v43, 0 :: v_dual_mov_b32 v44, 0
	.loc	1 29 22                         ; matmul.py:29:22
	s_and_b32 s5, vcc_lo, s24
	.loc	1 26 22                         ; matmul.py:26:22
	v_add_co_u32 v241, s2, s14, v209
	s_delay_alu instid0(VALU_DEP_1)
	v_add_co_ci_u32_e64 v242, null, s15, v210, s2
	.loc	1 31 20                         ; matmul.py:31:20
	s_and_saveexec_b32 s2, s5
	s_cbranch_execz .LBB0_82
; %bb.81:
	global_load_u16 v44, v[241:242], off
.LBB0_82:
	.loc	1 0 20 is_stmt 0                ; matmul.py:0:20
	s_or_b32 exec_lo, exec_lo, s2
	.loc	1 26 52 is_stmt 1               ; matmul.py:26:52
	v_mad_u64_u32 v[45:46], null, s4, 18, v[1:2]
	.loc	1 26 29 is_stmt 0               ; matmul.py:26:29
	v_or_b32_e32 v47, 18, v255
	s_delay_alu instid0(VALU_DEP_1) | instskip(NEXT) | instid1(VALU_DEP_3)
	.loc	1 31 51 is_stmt 1               ; matmul.py:31:51
	v_cmp_gt_i32_e32 vcc_lo, s22, v47
	.loc	1 26 22                         ; matmul.py:26:22
	v_ashrrev_i32_e32 v46, 31, v45
	.loc	1 29 22                         ; matmul.py:29:22
	s_and_b32 s5, vcc_lo, s24
	s_delay_alu instid0(VALU_DEP_1) | instskip(NEXT) | instid1(VALU_DEP_1)
	.loc	1 26 22                         ; matmul.py:26:22
	v_lshlrev_b64 v[211:212], 1, v[45:46]
	v_add_co_u32 v243, s2, s14, v211
	s_delay_alu instid0(VALU_DEP_1)
	v_add_co_ci_u32_e64 v244, null, s15, v212, s2
	.loc	1 31 20                         ; matmul.py:31:20
	s_and_saveexec_b32 s2, s5
	s_cbranch_execz .LBB0_84
; %bb.83:
	global_load_u16 v43, v[243:244], off
.LBB0_84:
	.loc	1 0 20 is_stmt 0                ; matmul.py:0:20
	s_or_b32 exec_lo, exec_lo, s2
	.loc	1 26 52 is_stmt 1               ; matmul.py:26:52
	v_mad_u64_u32 v[45:46], null, s4, 20, v[1:2]
	.loc	1 26 29 is_stmt 0               ; matmul.py:26:29
	v_or_b32_e32 v47, 20, v255
	s_delay_alu instid0(VALU_DEP_1) | instskip(NEXT) | instid1(VALU_DEP_3)
	.loc	1 31 51 is_stmt 1               ; matmul.py:31:51
	v_cmp_gt_i32_e32 vcc_lo, s22, v47
	.loc	1 26 22                         ; matmul.py:26:22
	v_ashrrev_i32_e32 v46, 31, v45
	.loc	1 29 22                         ; matmul.py:29:22
	s_and_b32 s5, vcc_lo, s24
	s_delay_alu instid0(VALU_DEP_1) | instskip(SKIP_1) | instid1(VALU_DEP_2)
	.loc	1 26 22                         ; matmul.py:26:22
	v_lshlrev_b64 v[213:214], 1, v[45:46]
	v_dual_mov_b32 v45, 0 :: v_dual_mov_b32 v46, 0
	v_add_co_u32 v245, s2, s14, v213
	s_delay_alu instid0(VALU_DEP_1)
	v_add_co_ci_u32_e64 v246, null, s15, v214, s2
	.loc	1 31 20                         ; matmul.py:31:20
	s_and_saveexec_b32 s2, s5
	s_cbranch_execz .LBB0_86
; %bb.85:
	global_load_u16 v46, v[245:246], off
.LBB0_86:
	.loc	1 0 20 is_stmt 0                ; matmul.py:0:20
	s_or_b32 exec_lo, exec_lo, s2
	.loc	1 26 52 is_stmt 1               ; matmul.py:26:52
	v_mad_u64_u32 v[47:48], null, s4, 22, v[1:2]
	.loc	1 26 29 is_stmt 0               ; matmul.py:26:29
	v_or_b32_e32 v49, 22, v255
	s_delay_alu instid0(VALU_DEP_1) | instskip(NEXT) | instid1(VALU_DEP_3)
	.loc	1 31 51 is_stmt 1               ; matmul.py:31:51
	v_cmp_gt_i32_e32 vcc_lo, s22, v49
	.loc	1 26 22                         ; matmul.py:26:22
	v_ashrrev_i32_e32 v48, 31, v47
	.loc	1 29 22                         ; matmul.py:29:22
	s_and_b32 s5, vcc_lo, s24
	s_delay_alu instid0(VALU_DEP_1) | instskip(NEXT) | instid1(VALU_DEP_1)
	.loc	1 26 22                         ; matmul.py:26:22
	v_lshlrev_b64 v[215:216], 1, v[47:48]
	v_add_co_u32 v247, s2, s14, v215
	s_delay_alu instid0(VALU_DEP_1)
	v_add_co_ci_u32_e64 v248, null, s15, v216, s2
	.loc	1 31 20                         ; matmul.py:31:20
	s_and_saveexec_b32 s2, s5
	s_cbranch_execz .LBB0_88
; %bb.87:
	global_load_u16 v45, v[247:248], off
.LBB0_88:
	.loc	1 0 20 is_stmt 0                ; matmul.py:0:20
	s_or_b32 exec_lo, exec_lo, s2
	.loc	1 26 52 is_stmt 1               ; matmul.py:26:52
	v_mad_u64_u32 v[47:48], null, s4, 24, v[1:2]
	.loc	1 26 29 is_stmt 0               ; matmul.py:26:29
	v_or_b32_e32 v49, 24, v255
	s_delay_alu instid0(VALU_DEP_1) | instskip(NEXT) | instid1(VALU_DEP_3)
	.loc	1 31 51 is_stmt 1               ; matmul.py:31:51
	v_cmp_gt_i32_e32 vcc_lo, s22, v49
	.loc	1 26 22                         ; matmul.py:26:22
	v_ashrrev_i32_e32 v48, 31, v47
	.loc	1 29 22                         ; matmul.py:29:22
	s_and_b32 s5, vcc_lo, s24
	s_delay_alu instid0(VALU_DEP_1) | instskip(SKIP_1) | instid1(VALU_DEP_2)
	.loc	1 26 22                         ; matmul.py:26:22
	v_lshlrev_b64 v[217:218], 1, v[47:48]
	v_dual_mov_b32 v47, 0 :: v_dual_mov_b32 v48, 0
	;; [unrolled: 51-line block ×3, first 2 shown]
	v_add_co_u32 v253, s2, s14, v221
	s_delay_alu instid0(VALU_DEP_1)
	v_add_co_ci_u32_e64 v254, null, s15, v222, s2
	.loc	1 31 20                         ; matmul.py:31:20
	s_and_saveexec_b32 s2, s5
	s_cbranch_execz .LBB0_94
; %bb.93:
	global_load_u16 v50, v[253:254], off
.LBB0_94:
	.loc	1 0 20 is_stmt 0                ; matmul.py:0:20
	s_or_b32 exec_lo, exec_lo, s2
	.loc	1 26 52 is_stmt 1               ; matmul.py:26:52
	v_mad_u64_u32 v[51:52], null, s4, 30, v[1:2]
	.loc	1 26 29 is_stmt 0               ; matmul.py:26:29
	v_or_b32_e32 v1, 30, v255
	s_delay_alu instid0(VALU_DEP_1) | instskip(NEXT) | instid1(VALU_DEP_3)
	.loc	1 31 51 is_stmt 1               ; matmul.py:31:51
	v_cmp_gt_i32_e32 vcc_lo, s22, v1
	.loc	1 26 22                         ; matmul.py:26:22
	v_ashrrev_i32_e32 v52, 31, v51
	.loc	1 29 22                         ; matmul.py:29:22
	s_and_b32 s5, vcc_lo, s24
	s_delay_alu instid0(VALU_DEP_1) | instskip(SKIP_1) | instid1(VALU_DEP_2)
	.loc	1 26 22                         ; matmul.py:26:22
	v_lshlrev_b64 v[223:224], 1, v[51:52]
	v_and_b32_e32 v51, 64, v0
	v_add_co_u32 v129, s2, s14, v223
	s_delay_alu instid0(VALU_DEP_1)
	v_add_co_ci_u32_e64 v130, null, s15, v224, s2
	.loc	1 31 20                         ; matmul.py:31:20
	s_and_saveexec_b32 s2, s5
	s_cbranch_execz .LBB0_96
; %bb.95:
	global_load_u16 v49, v[129:130], off
.LBB0_96:
	.loc	1 0 20 is_stmt 0                ; matmul.py:0:20
	s_or_b32 exec_lo, exec_lo, s2
	.loc	1 22 51 is_stmt 1               ; matmul.py:22:51
	v_cmp_eq_u32_e32 vcc_lo, 0, v51
	.loc	1 30 20                         ; matmul.py:30:20
	v_lshlrev_b32_e32 v1, 1, v38
	s_load_b64 s[18:19], s[0:1], 0x10
	v_mov_b32_e32 v55, 0
	v_dual_mov_b32 v53, 0 :: v_dual_mov_b32 v64, 0
	v_cndmask_b32_e64 v38, 0x90, 0, vcc_lo
	v_dual_mov_b32 v51, 0 :: v_dual_mov_b32 v62, 0
	v_dual_mov_b32 v63, 0 :: v_dual_mov_b32 v58, 0
	s_delay_alu instid0(VALU_DEP_3)
	v_xor_b32_e32 v1, v38, v1
	v_mov_b32_e32 v61, 0
	v_mov_b32_e32 v59, 0
	;; [unrolled: 1-line block ×3, first 2 shown]
	.loc	1 29 22                         ; matmul.py:29:22
	s_cmp_lt_i32 s25, 64
	.loc	1 30 20                         ; matmul.py:30:20
	v_add_nc_u32_e32 v131, 0, v1
	v_xor_b32_e32 v1, 32, v1
	ds_store_b16 v131, v11
	ds_store_b16 v131, v13 offset:512
	ds_store_b16 v131, v15 offset:1024
	;; [unrolled: 1-line block ×7, first 2 shown]
	v_add_nc_u32_e32 v132, 0, v1
	.loc	1 31 20                         ; matmul.py:31:20
	v_lshlrev_b32_e32 v1, 1, v0
	.loc	1 30 20                         ; matmul.py:30:20
	ds_store_b16 v131, v29 offset:4096
	ds_store_b16 v131, v32 offset:4608
	;; [unrolled: 1-line block ×16, first 2 shown]
	.loc	1 31 20                         ; matmul.py:31:20
	v_add_nc_u32_e32 v133, 0, v1
	.loc	1 30 20                         ; matmul.py:30:20
	ds_store_b16 v132, v25 offset:4352
	ds_store_b16 v132, v28 offset:4864
	;; [unrolled: 1-line block ×8, first 2 shown]
	.loc	1 31 20                         ; matmul.py:31:20
	ds_store_b16 v133, v4 offset:8192
	ds_store_b16 v133, v2 offset:8448
	;; [unrolled: 1-line block ×3, first 2 shown]
	s_waitcnt vmcnt(0)
	ds_store_b16 v133, v5 offset:8960
	ds_store_b16 v133, v40 offset:9216
	;; [unrolled: 1-line block ×5, first 2 shown]
	v_mov_b32_e32 v4, 0
	v_or_b32_e32 v9, 0x700, v1
	v_or_b32_e32 v1, 0xf00, v1
	v_dual_mov_b32 v8, 0 :: v_dual_mov_b32 v7, 0
	v_mov_b32_e32 v6, 0
	s_delay_alu instid0(VALU_DEP_4) | instskip(NEXT) | instid1(VALU_DEP_4)
	v_dual_mov_b32 v5, 0 :: v_dual_add_nc_u32 v134, 0, v9
	v_dual_mov_b32 v16, 0 :: v_dual_add_nc_u32 v135, 0, v1
	v_dual_mov_b32 v3, 0 :: v_dual_mov_b32 v14, 0
	v_mov_b32_e32 v2, 0
	ds_store_b16 v133, v43 offset:10496
	ds_store_b16 v133, v46 offset:10752
	;; [unrolled: 1-line block ×8, first 2 shown]
	v_dual_mov_b32 v1, 0 :: v_dual_mov_b32 v12, 0
	v_dual_mov_b32 v15, 0 :: v_dual_mov_b32 v10, 0
	;; [unrolled: 1-line block ×22, first 2 shown]
	v_mov_b32_e32 v60, 0
	.loc	1 29 22                         ; matmul.py:29:22
	s_cbranch_scc1 .LBB0_292
; %bb.97:                               ; %.lr.ph
	.loc	1 0 22 is_stmt 0                ; matmul.py:0:22
	v_dual_mov_b32 v156, 0 :: v_dual_and_b32 v1, 31, v0
	.loc	1 30 55 is_stmt 1               ; matmul.py:30:55
	s_sub_i32 s5, s22, 32
	v_mov_b32_e32 v157, 0
	.loc	1 33 33                         ; matmul.py:33:33
	s_lshl_b32 s16, s3, 5
	s_delay_alu instid0(VALU_DEP_2)
	.loc	1 30 51                         ; matmul.py:30:51
	v_cmp_gt_u32_e32 vcc_lo, s5, v1
	s_ashr_i32 s17, s16, 31
	.loc	1 30 20 is_stmt 0               ; matmul.py:30:20
	s_and_saveexec_b32 s3, vcc_lo
	s_cbranch_execz .LBB0_99
; %bb.98:
	.loc	1 33 18 is_stmt 1               ; matmul.py:33:18
	s_lshl_b64 s[6:7], s[16:17], 1
	s_delay_alu instid0(SALU_CYCLE_1) | instskip(NEXT) | instid1(VALU_DEP_1)
	v_add_co_u32 v1, s2, v65, s6
	v_add_co_ci_u32_e64 v2, null, s7, v66, s2
	.loc	1 30 20                         ; matmul.py:30:20
	global_load_u16 v157, v[1:2], off
.LBB0_99:
	.loc	1 0 20 is_stmt 0                ; matmul.py:0:20
	s_or_b32 exec_lo, exec_lo, s3
	s_delay_alu instid0(SALU_CYCLE_1) | instskip(SKIP_2) | instid1(SALU_CYCLE_1)
	.loc	1 30 20                         ; matmul.py:30:20
	s_mov_b32 s3, exec_lo
	v_and_b32_e32 v4, 15, v0
	s_and_b32 s2, s3, vcc_lo
	s_mov_b32 exec_lo, s2
	s_cbranch_execz .LBB0_101
; %bb.100:
	.loc	1 33 18 is_stmt 1               ; matmul.py:33:18
	s_lshl_b64 s[6:7], s[16:17], 1
	s_delay_alu instid0(SALU_CYCLE_1) | instskip(NEXT) | instid1(VALU_DEP_1)
	v_add_co_u32 v1, s2, v67, s6
	v_add_co_ci_u32_e64 v2, null, s7, v68, s2
	.loc	1 30 20                         ; matmul.py:30:20
	global_load_u16 v156, v[1:2], off
.LBB0_101:
	.loc	1 0 20 is_stmt 0                ; matmul.py:0:20
	s_or_b32 exec_lo, exec_lo, s3
	v_dual_mov_b32 v158, 0 :: v_dual_mov_b32 v159, 0
	.loc	1 30 20                         ; matmul.py:30:20
	s_and_saveexec_b32 s3, vcc_lo
	s_cbranch_execz .LBB0_103
; %bb.102:
	.loc	1 33 18 is_stmt 1               ; matmul.py:33:18
	s_lshl_b64 s[6:7], s[16:17], 1
	s_delay_alu instid0(SALU_CYCLE_1) | instskip(NEXT) | instid1(VALU_DEP_1)
	v_add_co_u32 v1, s2, v69, s6
	v_add_co_ci_u32_e64 v2, null, s7, v70, s2
	.loc	1 30 20                         ; matmul.py:30:20
	global_load_u16 v159, v[1:2], off
.LBB0_103:
	.loc	1 0 20 is_stmt 0                ; matmul.py:0:20
	s_or_b32 exec_lo, exec_lo, s3
	.loc	1 30 20                         ; matmul.py:30:20
	s_and_saveexec_b32 s3, vcc_lo
	s_cbranch_execz .LBB0_105
; %bb.104:
	.loc	1 33 18 is_stmt 1               ; matmul.py:33:18
	s_lshl_b64 s[6:7], s[16:17], 1
	s_delay_alu instid0(SALU_CYCLE_1) | instskip(NEXT) | instid1(VALU_DEP_1)
	v_add_co_u32 v1, s2, v71, s6
	v_add_co_ci_u32_e64 v2, null, s7, v72, s2
	.loc	1 30 20                         ; matmul.py:30:20
	global_load_u16 v158, v[1:2], off
.LBB0_105:
	.loc	1 0 20 is_stmt 0                ; matmul.py:0:20
	s_or_b32 exec_lo, exec_lo, s3
	v_dual_mov_b32 v160, 0 :: v_dual_mov_b32 v161, 0
	.loc	1 30 20                         ; matmul.py:30:20
	s_and_saveexec_b32 s3, vcc_lo
	s_cbranch_execz .LBB0_107
; %bb.106:
	.loc	1 33 18 is_stmt 1               ; matmul.py:33:18
	s_lshl_b64 s[6:7], s[16:17], 1
	s_delay_alu instid0(SALU_CYCLE_1) | instskip(NEXT) | instid1(VALU_DEP_1)
	v_add_co_u32 v1, s2, v73, s6
	v_add_co_ci_u32_e64 v2, null, s7, v74, s2
	.loc	1 30 20                         ; matmul.py:30:20
	global_load_u16 v161, v[1:2], off
.LBB0_107:
	.loc	1 0 20 is_stmt 0                ; matmul.py:0:20
	s_or_b32 exec_lo, exec_lo, s3
	.loc	1 30 20                         ; matmul.py:30:20
	s_and_saveexec_b32 s3, vcc_lo
	;; [unrolled: 29-line block ×15, first 2 shown]
	s_cbranch_execz .LBB0_161
; %bb.160:
	.loc	1 33 18 is_stmt 1               ; matmul.py:33:18
	s_lshl_b64 s[6:7], s[16:17], 1
	s_delay_alu instid0(SALU_CYCLE_1) | instskip(NEXT) | instid1(VALU_DEP_1)
	v_add_co_u32 v1, vcc_lo, v233, s6
	v_add_co_ci_u32_e64 v2, null, s7, v234, vcc_lo
	.loc	1 30 20                         ; matmul.py:30:20
	global_load_u16 v121, v[1:2], off
.LBB0_161:
	.loc	1 0 20 is_stmt 0                ; matmul.py:0:20
	s_or_b32 exec_lo, exec_lo, s2
	v_dual_mov_b32 v126, 0 :: v_dual_lshlrev_b32 v1, 3, v0
	v_and_b32_e32 v3, 64, v0
	v_dual_mov_b32 v125, 0 :: v_dual_lshlrev_b32 v2, 6, v4
	s_delay_alu instid0(VALU_DEP_3)
	v_and_b32_e32 v1, 48, v1
	.loc	1 30 20                         ; matmul.py:30:20
	s_waitcnt vmcnt(0) lgkmcnt(0)
	s_waitcnt_vscnt null, 0x0
	v_lshlrev_b32_e32 v3, 4, v3
	s_barrier
	buffer_gl0_inv
	.loc	1 34 33 is_stmt 1               ; matmul.py:34:33
	s_lshl_b32 s2, s4, 5
	.loc	1 31 20                         ; matmul.py:31:20
	s_mov_b32 s4, exec_lo
	v_or3_b32 v1, v2, v1, v3
	s_ashr_i32 s3, s2, 31
	s_delay_alu instid0(VALU_DEP_1)
	v_xor_b32_e32 v2, 16, v1
	.loc	1 30 20                         ; matmul.py:30:20
	v_add_nc_u32_e32 v136, 0, v1
	v_xor_b32_e32 v3, 32, v1
	v_xor_b32_e32 v1, 48, v1
	ds_load_b128 v[17:20], v136
	ds_load_b128 v[97:100], v136 offset:2048
	v_add_nc_u32_e32 v227, 0, v2
	v_add_nc_u32_e32 v228, 0, v3
	v_add_nc_u32_e32 v233, 0, v1
	ds_load_b128 v[105:108], v136 offset:4096
	ds_load_b128 v[113:116], v136 offset:6144
	ds_load_b128 v[21:24], v227
	ds_load_b128 v[101:104], v227 offset:2048
	ds_load_b128 v[109:112], v227 offset:4096
	;; [unrolled: 1-line block ×3, first 2 shown]
	ds_load_b128 v[69:72], v233
	ds_load_b128 v[65:68], v228
	ds_load_b128 v[73:76], v228 offset:2048
	ds_load_b128 v[77:80], v233 offset:2048
	;; [unrolled: 1-line block ×6, first 2 shown]
	.loc	1 31 51                         ; matmul.py:31:51
	v_cmpx_gt_u32_e64 s5, v255
	.loc	1 31 20 is_stmt 0               ; matmul.py:31:20
	s_cbranch_execz .LBB0_163
; %bb.162:
	.loc	1 34 18 is_stmt 1               ; matmul.py:34:18
	s_lshl_b64 s[6:7], s[2:3], 1
	s_delay_alu instid0(SALU_CYCLE_1) | instskip(NEXT) | instid1(VALU_DEP_1)
	v_add_co_u32 v1, vcc_lo, v123, s6
	v_add_co_ci_u32_e64 v2, null, s7, v124, vcc_lo
	.loc	1 31 20                         ; matmul.py:31:20
	global_load_u16 v126, v[1:2], off
.LBB0_163:
	.loc	1 0 20 is_stmt 0                ; matmul.py:0:20
	s_or_b32 exec_lo, exec_lo, s4
	.loc	1 31 51                         ; matmul.py:31:51
	v_or_b32_e32 v1, 2, v255
	.loc	1 31 20                         ; matmul.py:31:20
	s_mov_b32 s4, exec_lo
	s_delay_alu instid0(VALU_DEP_1)
	.loc	1 31 51                         ; matmul.py:31:51
	v_cmpx_gt_u32_e64 s5, v1
	.loc	1 31 20                         ; matmul.py:31:20
	s_cbranch_execz .LBB0_165
; %bb.164:
	.loc	1 34 18 is_stmt 1               ; matmul.py:34:18
	s_lshl_b64 s[6:7], s[2:3], 1
	s_delay_alu instid0(SALU_CYCLE_1) | instskip(NEXT) | instid1(VALU_DEP_1)
	v_add_co_u32 v1, vcc_lo, v127, s6
	v_add_co_ci_u32_e64 v2, null, s7, v128, vcc_lo
	.loc	1 31 20                         ; matmul.py:31:20
	global_load_u16 v125, v[1:2], off
.LBB0_165:
	.loc	1 0 20 is_stmt 0                ; matmul.py:0:20
	s_or_b32 exec_lo, exec_lo, s4
	.loc	1 31 51                         ; matmul.py:31:51
	v_or_b32_e32 v1, 4, v255
	v_dual_mov_b32 v123, 0 :: v_dual_mov_b32 v124, 0
	.loc	1 31 20                         ; matmul.py:31:20
	s_mov_b32 s4, exec_lo
	s_delay_alu instid0(VALU_DEP_2)
	.loc	1 31 51                         ; matmul.py:31:51
	v_cmpx_gt_u32_e64 s5, v1
	.loc	1 31 20                         ; matmul.py:31:20
	s_cbranch_execz .LBB0_167
; %bb.166:
	.loc	1 34 18 is_stmt 1               ; matmul.py:34:18
	s_lshl_b64 s[6:7], s[2:3], 1
	s_delay_alu instid0(SALU_CYCLE_1) | instskip(NEXT) | instid1(VALU_DEP_1)
	v_add_co_u32 v1, vcc_lo, v225, s6
	v_add_co_ci_u32_e64 v2, null, s7, v226, vcc_lo
	.loc	1 31 20                         ; matmul.py:31:20
	global_load_u16 v124, v[1:2], off
.LBB0_167:
	.loc	1 0 20 is_stmt 0                ; matmul.py:0:20
	s_or_b32 exec_lo, exec_lo, s4
	.loc	1 31 51                         ; matmul.py:31:51
	v_or_b32_e32 v1, 6, v255
	.loc	1 31 20                         ; matmul.py:31:20
	s_mov_b32 s4, exec_lo
	s_delay_alu instid0(VALU_DEP_1)
	.loc	1 31 51                         ; matmul.py:31:51
	v_cmpx_gt_u32_e64 s5, v1
	.loc	1 31 20                         ; matmul.py:31:20
	s_cbranch_execz .LBB0_169
; %bb.168:
	.loc	1 34 18 is_stmt 1               ; matmul.py:34:18
	s_lshl_b64 s[6:7], s[2:3], 1
	s_delay_alu instid0(SALU_CYCLE_1) | instskip(NEXT) | instid1(VALU_DEP_1)
	v_add_co_u32 v1, vcc_lo, v229, s6
	v_add_co_ci_u32_e64 v2, null, s7, v230, vcc_lo
	.loc	1 31 20                         ; matmul.py:31:20
	global_load_u16 v123, v[1:2], off
.LBB0_169:
	.loc	1 0 20 is_stmt 0                ; matmul.py:0:20
	s_or_b32 exec_lo, exec_lo, s4
	.loc	1 31 51                         ; matmul.py:31:51
	v_or_b32_e32 v1, 8, v255
	v_dual_mov_b32 v127, 0 :: v_dual_mov_b32 v128, 0
	.loc	1 31 20                         ; matmul.py:31:20
	s_mov_b32 s4, exec_lo
	s_delay_alu instid0(VALU_DEP_2)
	.loc	1 31 51                         ; matmul.py:31:51
	v_cmpx_gt_u32_e64 s5, v1
	.loc	1 31 20                         ; matmul.py:31:20
	;; [unrolled: 41-line block ×7, first 2 shown]
	s_cbranch_execz .LBB0_191
; %bb.190:
	.loc	1 34 18 is_stmt 1               ; matmul.py:34:18
	s_lshl_b64 s[6:7], s[2:3], 1
	s_delay_alu instid0(SALU_CYCLE_1) | instskip(NEXT) | instid1(VALU_DEP_1)
	v_add_co_u32 v1, vcc_lo, v253, s6
	v_add_co_ci_u32_e64 v2, null, s7, v254, vcc_lo
	.loc	1 31 20                         ; matmul.py:31:20
	global_load_u16 v147, v[1:2], off
.LBB0_191:
	.loc	1 0 20 is_stmt 0                ; matmul.py:0:20
	s_or_b32 exec_lo, exec_lo, s4
	.loc	1 31 51                         ; matmul.py:31:51
	v_or_b32_e32 v1, 30, v255
	.loc	1 31 20                         ; matmul.py:31:20
	s_mov_b32 s4, exec_lo
	s_delay_alu instid0(VALU_DEP_1)
	.loc	1 31 51                         ; matmul.py:31:51
	v_cmpx_gt_u32_e64 s5, v1
	.loc	1 31 20                         ; matmul.py:31:20
	s_cbranch_execz .LBB0_193
; %bb.192:
	.loc	1 34 18 is_stmt 1               ; matmul.py:34:18
	s_lshl_b64 s[6:7], s[2:3], 1
	s_delay_alu instid0(SALU_CYCLE_1) | instskip(NEXT) | instid1(VALU_DEP_1)
	v_add_co_u32 v1, vcc_lo, v129, s6
	v_add_co_ci_u32_e64 v2, null, s7, v130, vcc_lo
	.loc	1 31 20                         ; matmul.py:31:20
	global_load_u16 v146, v[1:2], off
.LBB0_193:
	.loc	1 0 20 is_stmt 0                ; matmul.py:0:20
	s_or_b32 exec_lo, exec_lo, s4
	.loc	1 31 20                         ; matmul.py:31:20
	s_mov_b32 s4, 0
	s_delay_alu instid0(SALU_CYCLE_1)
	.loc	1 32 35 is_stmt 1               ; matmul.py:32:35
	s_mov_b32 s5, s4
	s_mov_b32 s6, s4
	;; [unrolled: 1-line block ×7, first 2 shown]
	.loc	1 31 20                         ; matmul.py:31:20
	v_and_b32_e32 v1, 32, v0
	s_delay_alu instid0(VALU_DEP_1) | instskip(NEXT) | instid1(VALU_DEP_1)
	v_add_nc_u32_e32 v1, 0, v1
	v_lshl_add_u32 v129, v4, 1, v1
	ds_load_u16 v39, v129 offset:9728
	ds_load_u16 v40, v129 offset:9984
	ds_load_u16 v34, v129 offset:8448
	ds_load_u16 v33, v129 offset:8192
	ds_load_u16 v35, v129 offset:8704
	ds_load_u16 v36, v129 offset:8960
	ds_load_u16 v37, v129 offset:9216
	ds_load_u16 v38, v129 offset:9472
	ds_load_u16 v151, v129 offset:9024
	ds_load_u16 v153, v129 offset:9536
	ds_load_u16 v152, v129 offset:9280
	ds_load_u16 v154, v129 offset:9792
	ds_load_u16 v155, v129 offset:10048
	ds_load_u16 v150, v129 offset:8768
	ds_load_u16 v149, v129 offset:8512
	.loc	1 32 35                         ; matmul.py:32:35
	v_dual_mov_b32 v1, s4 :: v_dual_mov_b32 v6, s9
	v_dual_mov_b32 v2, s5 :: v_dual_mov_b32 v3, s6
	v_mov_b32_e32 v8, s11
	v_mov_b32_e32 v4, s7
	.loc	1 31 20                         ; matmul.py:31:20
	s_waitcnt lgkmcnt(8)
	ds_load_u16_d16_hi v37, v129 offset:9344
	s_waitcnt lgkmcnt(8)
	ds_load_u16_d16_hi v38, v129 offset:9600
	;; [unrolled: 2-line block ×3, first 2 shown]
	ds_load_u16 v148, v129 offset:8256
	.loc	1 32 35                         ; matmul.py:32:35
	v_mov_b32_e32 v5, s8
	v_mov_b32_e32 v7, s10
.Ltmp12:
	.loc	2 43 30                         ; standard.py:43:30 @[ matmul.py:29:33 ]
	s_ashr_i32 s4, s25, 31
.Ltmp13:
	.loc	1 31 20                         ; matmul.py:31:20
	ds_load_u16_d16_hi v34, v129 offset:8576
	ds_load_u16_d16_hi v33, v129 offset:8320
	;; [unrolled: 1-line block ×4, first 2 shown]
	ds_load_u16 v234, v129 offset:10240
	ds_load_u16 v235, v129 offset:10496
	;; [unrolled: 1-line block ×3, first 2 shown]
	ds_load_u16_d16_hi v39, v129 offset:9856
	s_waitcnt lgkmcnt(17)
	ds_load_u16_d16_hi v153, v129 offset:9664
	ds_load_u16_d16_hi v40, v129 offset:10112
	s_waitcnt lgkmcnt(16)
	ds_load_u16_d16_hi v155, v129 offset:10176
	ds_load_u16 v243, v129 offset:10560
	ds_load_u16 v242, v129 offset:10304
	ds_load_u16_d16_hi v154, v129 offset:9920
	ds_load_u16_d16_hi v152, v129 offset:9408
	s_waitcnt lgkmcnt(15)
	ds_load_u16_d16_hi v148, v129 offset:8384
	ds_load_u16_d16_hi v150, v129 offset:8896
	;; [unrolled: 1-line block ×3, first 2 shown]
	ds_load_u16 v237, v129 offset:11008
	ds_load_u16 v244, v129 offset:10816
	;; [unrolled: 1-line block ×11, first 2 shown]
	s_waitcnt lgkmcnt(24)
	ds_load_u16_d16_hi v234, v129 offset:10368
.Ltmp14:
	.loc	2 43 30                         ; standard.py:43:30 @[ matmul.py:29:33 ]
	s_lshr_b32 s4, s4, 27
.Ltmp15:
	.loc	1 31 20                         ; matmul.py:31:20
	s_waitcnt lgkmcnt(11)
	ds_load_u16_d16_hi v237, v129 offset:11136
	s_waitcnt lgkmcnt(11)
	ds_load_u16_d16_hi v244, v129 offset:10944
	;; [unrolled: 2-line block ×6, first 2 shown]
	ds_load_u16_d16_hi v236, v129 offset:10880
	ds_load_u16_d16_hi v235, v129 offset:10624
	;; [unrolled: 1-line block ×4, first 2 shown]
	s_waitcnt lgkmcnt(15)
	ds_load_u16_d16_hi v240, v129 offset:11904
	s_waitcnt lgkmcnt(15)
	ds_load_u16_d16_hi v241, v129 offset:12160
	;; [unrolled: 2-line block ×5, first 2 shown]
	.loc	1 32 35                         ; matmul.py:32:35
	v_wmma_f32_16x16x16_bf16 v[57:64], v[33:40], v[17:24], v[1:8]
	v_wmma_f32_16x16x16_bf16 v[41:48], v[33:40], v[97:104], v[1:8]
	;; [unrolled: 1-line block ×8, first 2 shown]
.Ltmp16:
	.loc	2 43 30                         ; standard.py:43:30 @[ matmul.py:29:33 ]
	s_add_i32 s25, s25, s4
.Ltmp17:
	.loc	1 32 35                         ; matmul.py:32:35
	s_waitcnt lgkmcnt(3)
	v_wmma_f32_16x16x16_bf16 v[57:64], v[234:241], v[65:72], v[57:64]
.Ltmp18:
	.loc	2 43 30                         ; standard.py:43:30 @[ matmul.py:29:33 ]
	s_ashr_i32 s4, s25, 5
.Ltmp19:
	.loc	1 32 35                         ; matmul.py:32:35
	v_wmma_f32_16x16x16_bf16 v[41:48], v[234:241], v[73:80], v[41:48]
	v_wmma_f32_16x16x16_bf16 v[25:32], v[234:241], v[81:88], v[25:32]
	;; [unrolled: 1-line block ×3, first 2 shown]
	s_waitcnt lgkmcnt(0)
	v_wmma_f32_16x16x16_bf16 v[49:56], v[242:249], v[65:72], v[49:56]
	v_wmma_f32_16x16x16_bf16 v[33:40], v[242:249], v[73:80], v[33:40]
	;; [unrolled: 1-line block ×4, first 2 shown]
	.loc	1 29 22                         ; matmul.py:29:22
	s_max_i32 s11, s4, 2
	s_delay_alu instid0(SALU_CYCLE_1)
	s_cmp_eq_u32 s11, 2
	.loc	1 30 20                         ; matmul.py:30:20
	s_waitcnt vmcnt(0)
	s_barrier
	buffer_gl0_inv
	ds_store_b16 v131, v157
	ds_store_b16 v131, v159 offset:512
	ds_store_b16 v131, v161 offset:1024
	;; [unrolled: 1-line block ×31, first 2 shown]
	.loc	1 31 20                         ; matmul.py:31:20
	ds_store_b16 v133, v126 offset:8192
	ds_store_b16 v133, v125 offset:8448
	;; [unrolled: 1-line block ×16, first 2 shown]
	.loc	1 29 22                         ; matmul.py:29:22
	s_cbranch_scc1 .LBB0_292
; %bb.194:                              ; %.peel.next
	s_lshl_b64 s[4:5], s[2:3], 2
	s_delay_alu instid0(SALU_CYCLE_1)
	s_add_u32 s8, s14, s4
	s_addc_u32 s9, s15, s5
	s_lshl_b64 s[6:7], s[16:17], 2
	s_lshl_b64 s[4:5], s[2:3], 1
	s_add_u32 s3, s12, s6
	s_addc_u32 s10, s13, s7
	s_lshl_b64 s[6:7], s[16:17], 1
	s_add_i32 s11, s11, -2
	s_sub_i32 s12, s22, 64
	s_branch .LBB0_196
.LBB0_195:                              ;   in Loop: Header=BB0_196 Depth=1
	.loc	1 0 22 is_stmt 0                ; matmul.py:0:22
	s_or_b32 exec_lo, exec_lo, s2
	.loc	1 31 20 is_stmt 1               ; matmul.py:31:20
	ds_load_u16 v163, v129 offset:9728
	ds_load_u16 v164, v129 offset:9984
	;; [unrolled: 1-line block ×16, first 2 shown]
	.loc	1 29 22                         ; matmul.py:29:22
	s_add_u32 s8, s8, s4
	s_addc_u32 s9, s9, s5
	s_add_u32 s3, s3, s6
	s_addc_u32 s10, s10, s7
	s_add_i32 s11, s11, -1
	s_sub_i32 s12, s12, 32
	s_cmp_lg_u32 s11, 0
	.loc	1 31 20                         ; matmul.py:31:20
	s_waitcnt lgkmcnt(5)
	ds_load_u16_d16_hi v175, v129 offset:10944
	ds_load_u16_d16_hi v163, v129 offset:9856
	;; [unrolled: 1-line block ×5, first 2 shown]
	ds_load_u16 v165, v129 offset:8256
	ds_load_u16_d16_hi v158, v129 offset:8576
	ds_load_u16_d16_hi v157, v129 offset:8320
	ds_load_u16 v167, v129 offset:8768
	ds_load_u16 v166, v129 offset:8512
	ds_load_u16_d16_hi v161, v129 offset:9344
	ds_load_u16_d16_hi v159, v129 offset:8832
	;; [unrolled: 1-line block ×3, first 2 shown]
	ds_load_u16 v171, v129 offset:9792
	ds_load_u16 v173, v129 offset:10304
	;; [unrolled: 1-line block ×12, first 2 shown]
	s_waitcnt lgkmcnt(26)
	ds_load_u16_d16_hi v182, v129 offset:10624
	s_waitcnt lgkmcnt(26)
	ds_load_u16_d16_hi v183, v129 offset:10880
	;; [unrolled: 2-line block ×3, first 2 shown]
	ds_load_u16_d16_hi v168, v129 offset:9152
	s_waitcnt lgkmcnt(20)
	ds_load_u16_d16_hi v167, v129 offset:8896
	s_waitcnt lgkmcnt(20)
	ds_load_u16_d16_hi v166, v129 offset:8640
	ds_load_u16_d16_hi v170, v129 offset:9664
	s_waitcnt lgkmcnt(18)
	ds_load_u16_d16_hi v171, v129 offset:9920
	s_waitcnt lgkmcnt(17)
	ds_load_u16_d16_hi v172, v129 offset:10176
	ds_load_u16 v176, v129 offset:11072
	ds_load_u16_d16_hi v174, v129 offset:10688
	ds_load_u16_d16_hi v181, v129 offset:10368
	;; [unrolled: 1-line block ×3, first 2 shown]
	.loc	1 32 35                         ; matmul.py:32:35
	v_wmma_f32_16x16x16_bf16 v[57:64], v[157:164], v[97:104], v[57:64]
	v_wmma_f32_16x16x16_bf16 v[41:48], v[157:164], v[105:112], v[41:48]
	v_wmma_f32_16x16x16_bf16 v[25:32], v[157:164], v[113:120], v[25:32]
	v_wmma_f32_16x16x16_bf16 v[9:16], v[157:164], v[121:128], v[9:16]
	.loc	1 31 20                         ; matmul.py:31:20
	s_waitcnt lgkmcnt(21)
	ds_load_u16_d16_hi v184, v129 offset:11136
	s_waitcnt lgkmcnt(21)
	ds_load_u16_d16_hi v185, v129 offset:11392
	;; [unrolled: 2-line block ×3, first 2 shown]
	ds_load_u16_d16_hi v186, v129 offset:11648
	ds_load_u16_d16_hi v177, v129 offset:11456
	ds_load_u16_d16_hi v187, v129 offset:11904
	ds_load_u16_d16_hi v188, v129 offset:12160
	ds_load_u16_d16_hi v180, v129 offset:12224
	ds_load_u16_d16_hi v179, v129 offset:11968
	ds_load_u16_d16_hi v178, v129 offset:11712
	.loc	1 32 35                         ; matmul.py:32:35
	v_wmma_f32_16x16x16_bf16 v[49:56], v[165:172], v[97:104], v[49:56]
	v_wmma_f32_16x16x16_bf16 v[33:40], v[165:172], v[105:112], v[33:40]
	;; [unrolled: 1-line block ×4, first 2 shown]
	s_waitcnt lgkmcnt(3)
	v_wmma_f32_16x16x16_bf16 v[57:64], v[181:188], v[65:72], v[57:64]
	v_wmma_f32_16x16x16_bf16 v[41:48], v[181:188], v[73:80], v[41:48]
	;; [unrolled: 1-line block ×4, first 2 shown]
	s_waitcnt lgkmcnt(0)
	v_wmma_f32_16x16x16_bf16 v[49:56], v[173:180], v[65:72], v[49:56]
	v_wmma_f32_16x16x16_bf16 v[33:40], v[173:180], v[73:80], v[33:40]
	;; [unrolled: 1-line block ×4, first 2 shown]
	.loc	1 30 20                         ; matmul.py:30:20
	s_waitcnt vmcnt(0)
	s_barrier
	buffer_gl0_inv
	ds_store_b16 v131, v225
	ds_store_b16 v131, v229 offset:512
	ds_store_b16 v131, v231 offset:1024
	;; [unrolled: 1-line block ×31, first 2 shown]
	.loc	1 31 20                         ; matmul.py:31:20
	ds_store_b16 v133, v142 offset:8192
	ds_store_b16 v133, v141 offset:8448
	;; [unrolled: 1-line block ×16, first 2 shown]
	.loc	1 29 22                         ; matmul.py:29:22
	s_cbranch_scc0 .LBB0_292
.LBB0_196:                              ; =>This Inner Loop Header: Depth=1
	.loc	1 0 22 is_stmt 0                ; matmul.py:0:22
	v_dual_mov_b32 v130, 0 :: v_dual_and_b32 v65, 31, v0
	v_mov_b32_e32 v225, 0
	s_delay_alu instid0(VALU_DEP_2)
	.loc	1 30 51 is_stmt 1               ; matmul.py:30:51
	v_cmp_gt_i32_e32 vcc_lo, s12, v65
	.loc	1 30 20 is_stmt 0               ; matmul.py:30:20
	s_and_saveexec_b32 s13, vcc_lo
	s_cbranch_execz .LBB0_198
; %bb.197:                              ;   in Loop: Header=BB0_196 Depth=1
	.loc	1 0 20                          ; matmul.py:0:20
	scratch_load_b64 v[65:66], off, off     ; 8-byte Folded Reload
	.loc	1 33 18 is_stmt 1               ; matmul.py:33:18
	s_waitcnt vmcnt(0)
	v_add_co_u32 v65, s2, s3, v65
	s_delay_alu instid0(VALU_DEP_1)
	v_add_co_ci_u32_e64 v66, null, s10, v66, s2
	.loc	1 30 20                         ; matmul.py:30:20
	global_load_u16 v225, v[65:66], off
.LBB0_198:                              ;   in Loop: Header=BB0_196 Depth=1
	.loc	1 0 20 is_stmt 0                ; matmul.py:0:20
	s_or_b32 exec_lo, exec_lo, s13
	.loc	1 30 20                         ; matmul.py:30:20
	s_and_saveexec_b32 s13, vcc_lo
	s_cbranch_execz .LBB0_200
; %bb.199:                              ;   in Loop: Header=BB0_196 Depth=1
	.loc	1 0 20                          ; matmul.py:0:20
	scratch_load_b64 v[65:66], off, off offset:8 ; 8-byte Folded Reload
	.loc	1 33 18 is_stmt 1               ; matmul.py:33:18
	s_waitcnt vmcnt(0)
	v_add_co_u32 v65, s2, s3, v65
	s_delay_alu instid0(VALU_DEP_1)
	v_add_co_ci_u32_e64 v66, null, s10, v66, s2
	.loc	1 30 20                         ; matmul.py:30:20
	global_load_u16 v130, v[65:66], off
.LBB0_200:                              ;   in Loop: Header=BB0_196 Depth=1
	.loc	1 0 20 is_stmt 0                ; matmul.py:0:20
	s_or_b32 exec_lo, exec_lo, s13
	v_dual_mov_b32 v226, 0 :: v_dual_mov_b32 v229, 0
	.loc	1 30 20                         ; matmul.py:30:20
	s_and_saveexec_b32 s13, vcc_lo
	s_cbranch_execz .LBB0_202
; %bb.201:                              ;   in Loop: Header=BB0_196 Depth=1
	.loc	1 0 20                          ; matmul.py:0:20
	scratch_load_b64 v[65:66], off, off offset:16 ; 8-byte Folded Reload
	.loc	1 33 18 is_stmt 1               ; matmul.py:33:18
	s_waitcnt vmcnt(0)
	v_add_co_u32 v65, s2, s3, v65
	s_delay_alu instid0(VALU_DEP_1)
	v_add_co_ci_u32_e64 v66, null, s10, v66, s2
	.loc	1 30 20                         ; matmul.py:30:20
	global_load_u16 v229, v[65:66], off
.LBB0_202:                              ;   in Loop: Header=BB0_196 Depth=1
	.loc	1 0 20 is_stmt 0                ; matmul.py:0:20
	s_or_b32 exec_lo, exec_lo, s13
	.loc	1 30 20                         ; matmul.py:30:20
	s_and_saveexec_b32 s13, vcc_lo
	s_cbranch_execz .LBB0_204
; %bb.203:                              ;   in Loop: Header=BB0_196 Depth=1
	.loc	1 0 20                          ; matmul.py:0:20
	scratch_load_b64 v[65:66], off, off offset:24 ; 8-byte Folded Reload
	.loc	1 33 18 is_stmt 1               ; matmul.py:33:18
	s_waitcnt vmcnt(0)
	v_add_co_u32 v65, s2, s3, v65
	s_delay_alu instid0(VALU_DEP_1)
	v_add_co_ci_u32_e64 v66, null, s10, v66, s2
	.loc	1 30 20                         ; matmul.py:30:20
	global_load_u16 v226, v[65:66], off
.LBB0_204:                              ;   in Loop: Header=BB0_196 Depth=1
	.loc	1 0 20 is_stmt 0                ; matmul.py:0:20
	s_or_b32 exec_lo, exec_lo, s13
	v_dual_mov_b32 v230, 0 :: v_dual_mov_b32 v231, 0
	.loc	1 30 20                         ; matmul.py:30:20
	s_and_saveexec_b32 s13, vcc_lo
	s_cbranch_execz .LBB0_206
; %bb.205:                              ;   in Loop: Header=BB0_196 Depth=1
	.loc	1 0 20                          ; matmul.py:0:20
	scratch_load_b64 v[65:66], off, off offset:32 ; 8-byte Folded Reload
	.loc	1 33 18 is_stmt 1               ; matmul.py:33:18
	s_waitcnt vmcnt(0)
	v_add_co_u32 v65, s2, s3, v65
	s_delay_alu instid0(VALU_DEP_1)
	v_add_co_ci_u32_e64 v66, null, s10, v66, s2
	.loc	1 30 20                         ; matmul.py:30:20
	global_load_u16 v231, v[65:66], off
.LBB0_206:                              ;   in Loop: Header=BB0_196 Depth=1
	.loc	1 0 20 is_stmt 0                ; matmul.py:0:20
	s_or_b32 exec_lo, exec_lo, s13
	.loc	1 30 20                         ; matmul.py:30:20
	s_and_saveexec_b32 s13, vcc_lo
	s_cbranch_execz .LBB0_208
; %bb.207:                              ;   in Loop: Header=BB0_196 Depth=1
	.loc	1 0 20                          ; matmul.py:0:20
	scratch_load_b64 v[65:66], off, off offset:40 ; 8-byte Folded Reload
	.loc	1 33 18 is_stmt 1               ; matmul.py:33:18
	s_waitcnt vmcnt(0)
	v_add_co_u32 v65, s2, s3, v65
	s_delay_alu instid0(VALU_DEP_1)
	v_add_co_ci_u32_e64 v66, null, s10, v66, s2
	.loc	1 30 20                         ; matmul.py:30:20
	global_load_u16 v230, v[65:66], off
.LBB0_208:                              ;   in Loop: Header=BB0_196 Depth=1
	.loc	1 0 20 is_stmt 0                ; matmul.py:0:20
	s_or_b32 exec_lo, exec_lo, s13
	v_mov_b32_e32 v232, 0
	v_mov_b32_e32 v234, 0
	.loc	1 30 20                         ; matmul.py:30:20
	s_and_saveexec_b32 s13, vcc_lo
	s_cbranch_execz .LBB0_210
; %bb.209:                              ;   in Loop: Header=BB0_196 Depth=1
	.loc	1 0 20                          ; matmul.py:0:20
	scratch_load_b64 v[65:66], off, off offset:48 ; 8-byte Folded Reload
	.loc	1 33 18 is_stmt 1               ; matmul.py:33:18
	s_waitcnt vmcnt(0)
	v_add_co_u32 v65, s2, s3, v65
	s_delay_alu instid0(VALU_DEP_1)
	v_add_co_ci_u32_e64 v66, null, s10, v66, s2
	.loc	1 30 20                         ; matmul.py:30:20
	global_load_u16 v234, v[65:66], off
.LBB0_210:                              ;   in Loop: Header=BB0_196 Depth=1
	.loc	1 0 20 is_stmt 0                ; matmul.py:0:20
	s_or_b32 exec_lo, exec_lo, s13
	.loc	1 30 20                         ; matmul.py:30:20
	s_and_saveexec_b32 s13, vcc_lo
	s_cbranch_execz .LBB0_212
; %bb.211:                              ;   in Loop: Header=BB0_196 Depth=1
	.loc	1 0 20                          ; matmul.py:0:20
	scratch_load_b64 v[65:66], off, off offset:56 ; 8-byte Folded Reload
	.loc	1 33 18 is_stmt 1               ; matmul.py:33:18
	s_waitcnt vmcnt(0)
	v_add_co_u32 v65, s2, s3, v65
	s_delay_alu instid0(VALU_DEP_1)
	v_add_co_ci_u32_e64 v66, null, s10, v66, s2
	.loc	1 30 20                         ; matmul.py:30:20
	global_load_u16 v232, v[65:66], off
.LBB0_212:                              ;   in Loop: Header=BB0_196 Depth=1
	.loc	1 0 20 is_stmt 0                ; matmul.py:0:20
	s_or_b32 exec_lo, exec_lo, s13
	v_dual_mov_b32 v235, 0 :: v_dual_mov_b32 v236, 0
	.loc	1 30 20                         ; matmul.py:30:20
	s_and_saveexec_b32 s13, vcc_lo
	s_cbranch_execz .LBB0_214
; %bb.213:                              ;   in Loop: Header=BB0_196 Depth=1
	.loc	1 0 20                          ; matmul.py:0:20
	scratch_load_b64 v[65:66], off, off offset:64 ; 8-byte Folded Reload
	.loc	1 33 18 is_stmt 1               ; matmul.py:33:18
	s_waitcnt vmcnt(0)
	v_add_co_u32 v65, s2, s3, v65
	s_delay_alu instid0(VALU_DEP_1)
	v_add_co_ci_u32_e64 v66, null, s10, v66, s2
	.loc	1 30 20                         ; matmul.py:30:20
	global_load_u16 v236, v[65:66], off
.LBB0_214:                              ;   in Loop: Header=BB0_196 Depth=1
	.loc	1 0 20 is_stmt 0                ; matmul.py:0:20
	s_or_b32 exec_lo, exec_lo, s13
	.loc	1 30 20                         ; matmul.py:30:20
	s_and_saveexec_b32 s13, vcc_lo
	s_cbranch_execz .LBB0_216
; %bb.215:                              ;   in Loop: Header=BB0_196 Depth=1
	.loc	1 0 20                          ; matmul.py:0:20
	scratch_load_b64 v[65:66], off, off offset:72 ; 8-byte Folded Reload
	.loc	1 33 18 is_stmt 1               ; matmul.py:33:18
	s_waitcnt vmcnt(0)
	v_add_co_u32 v65, s2, s3, v65
	s_delay_alu instid0(VALU_DEP_1)
	v_add_co_ci_u32_e64 v66, null, s10, v66, s2
	.loc	1 30 20                         ; matmul.py:30:20
	global_load_u16 v235, v[65:66], off
.LBB0_216:                              ;   in Loop: Header=BB0_196 Depth=1
	.loc	1 0 20 is_stmt 0                ; matmul.py:0:20
	s_or_b32 exec_lo, exec_lo, s13
	v_dual_mov_b32 v237, 0 :: v_dual_mov_b32 v238, 0
	;; [unrolled: 33-line block ×12, first 2 shown]
	.loc	1 30 20                         ; matmul.py:30:20
	s_and_saveexec_b32 s13, vcc_lo
	s_cbranch_execz .LBB0_258
; %bb.257:                              ;   in Loop: Header=BB0_196 Depth=1
	.loc	1 33 18 is_stmt 1               ; matmul.py:33:18
	v_add_co_u32 v65, s2, s3, v189
	s_delay_alu instid0(VALU_DEP_1)
	v_add_co_ci_u32_e64 v66, null, s10, v190, s2
	.loc	1 30 20                         ; matmul.py:30:20
	global_load_u16 v140, v[65:66], off
.LBB0_258:                              ;   in Loop: Header=BB0_196 Depth=1
	.loc	1 0 20 is_stmt 0                ; matmul.py:0:20
	s_or_b32 exec_lo, exec_lo, s13
	.loc	1 30 20                         ; matmul.py:30:20
	s_and_saveexec_b32 s2, vcc_lo
	s_cbranch_execz .LBB0_260
; %bb.259:                              ;   in Loop: Header=BB0_196 Depth=1
	.loc	1 34 18 is_stmt 1               ; matmul.py:34:18
	v_add_co_u32 v65, vcc_lo, s3, v191
	s_delay_alu instid0(VALU_DEP_1)
	v_add_co_ci_u32_e64 v66, null, s10, v192, vcc_lo
	.loc	1 30 20                         ; matmul.py:30:20
	global_load_u16 v139, v[65:66], off
.LBB0_260:                              ;   in Loop: Header=BB0_196 Depth=1
	.loc	1 0 20 is_stmt 0                ; matmul.py:0:20
	s_or_b32 exec_lo, exec_lo, s2
	.loc	1 30 20                         ; matmul.py:30:20
	s_waitcnt vmcnt(0) lgkmcnt(0)
	s_barrier
	buffer_gl0_inv
	ds_load_b128 v[97:100], v136
	ds_load_b128 v[105:108], v136 offset:2048
	ds_load_b128 v[113:116], v136 offset:4096
	;; [unrolled: 1-line block ×3, first 2 shown]
	ds_load_b128 v[101:104], v227
	ds_load_b128 v[109:112], v227 offset:2048
	ds_load_b128 v[117:120], v227 offset:4096
	;; [unrolled: 1-line block ×3, first 2 shown]
	ds_load_b128 v[69:72], v233
	ds_load_b128 v[65:68], v228
	ds_load_b128 v[73:76], v228 offset:2048
	ds_load_b128 v[77:80], v233 offset:2048
	;; [unrolled: 1-line block ×6, first 2 shown]
	v_dual_mov_b32 v141, 0 :: v_dual_mov_b32 v142, 0
	.loc	1 31 20 is_stmt 1               ; matmul.py:31:20
	s_mov_b32 s2, exec_lo
	.loc	1 31 51 is_stmt 0               ; matmul.py:31:51
	v_cmpx_gt_i32_e64 s12, v255
	.loc	1 31 20                         ; matmul.py:31:20
	s_cbranch_execz .LBB0_262
; %bb.261:                              ;   in Loop: Header=BB0_196 Depth=1
	.loc	1 34 18 is_stmt 1               ; matmul.py:34:18
	v_add_co_u32 v142, vcc_lo, s8, v193
	s_delay_alu instid0(VALU_DEP_1)
	v_add_co_ci_u32_e64 v143, null, s9, v194, vcc_lo
	.loc	1 31 20                         ; matmul.py:31:20
	global_load_u16 v142, v[142:143], off
.LBB0_262:                              ;   in Loop: Header=BB0_196 Depth=1
	.loc	1 0 20 is_stmt 0                ; matmul.py:0:20
	s_or_b32 exec_lo, exec_lo, s2
	.loc	1 31 51                         ; matmul.py:31:51
	v_or_b32_e32 v143, 2, v255
	.loc	1 31 20                         ; matmul.py:31:20
	s_mov_b32 s2, exec_lo
	s_delay_alu instid0(VALU_DEP_1)
	.loc	1 31 51                         ; matmul.py:31:51
	v_cmpx_gt_i32_e64 s12, v143
	.loc	1 31 20                         ; matmul.py:31:20
	s_cbranch_execz .LBB0_264
; %bb.263:                              ;   in Loop: Header=BB0_196 Depth=1
	.loc	1 34 18 is_stmt 1               ; matmul.py:34:18
	v_add_co_u32 v143, vcc_lo, s8, v195
	s_delay_alu instid0(VALU_DEP_1)
	v_add_co_ci_u32_e64 v144, null, s9, v196, vcc_lo
	.loc	1 31 20                         ; matmul.py:31:20
	global_load_u16 v141, v[143:144], off
.LBB0_264:                              ;   in Loop: Header=BB0_196 Depth=1
	.loc	1 0 20 is_stmt 0                ; matmul.py:0:20
	s_or_b32 exec_lo, exec_lo, s2
	.loc	1 31 51                         ; matmul.py:31:51
	v_or_b32_e32 v143, 4, v255
	v_mov_b32_e32 v144, 0
	s_delay_alu instid0(VALU_DEP_2)
	v_cmp_gt_i32_e32 vcc_lo, s12, v143
	v_mov_b32_e32 v143, 0
	.loc	1 31 20                         ; matmul.py:31:20
	s_and_saveexec_b32 s2, vcc_lo
	s_cbranch_execz .LBB0_266
; %bb.265:                              ;   in Loop: Header=BB0_196 Depth=1
	.loc	1 34 18 is_stmt 1               ; matmul.py:34:18
	v_add_co_u32 v144, vcc_lo, s8, v197
	s_delay_alu instid0(VALU_DEP_1)
	v_add_co_ci_u32_e64 v145, null, s9, v198, vcc_lo
	.loc	1 31 20                         ; matmul.py:31:20
	global_load_u16 v144, v[144:145], off
.LBB0_266:                              ;   in Loop: Header=BB0_196 Depth=1
	.loc	1 0 20 is_stmt 0                ; matmul.py:0:20
	s_or_b32 exec_lo, exec_lo, s2
	.loc	1 31 51                         ; matmul.py:31:51
	v_or_b32_e32 v145, 6, v255
	.loc	1 31 20                         ; matmul.py:31:20
	s_mov_b32 s2, exec_lo
	s_delay_alu instid0(VALU_DEP_1)
	.loc	1 31 51                         ; matmul.py:31:51
	v_cmpx_gt_i32_e64 s12, v145
	.loc	1 31 20                         ; matmul.py:31:20
	s_cbranch_execz .LBB0_268
; %bb.267:                              ;   in Loop: Header=BB0_196 Depth=1
	.loc	1 34 18 is_stmt 1               ; matmul.py:34:18
	v_add_co_u32 v145, vcc_lo, s8, v199
	s_delay_alu instid0(VALU_DEP_1)
	v_add_co_ci_u32_e64 v146, null, s9, v200, vcc_lo
	.loc	1 31 20                         ; matmul.py:31:20
	global_load_u16 v143, v[145:146], off
.LBB0_268:                              ;   in Loop: Header=BB0_196 Depth=1
	.loc	1 0 20 is_stmt 0                ; matmul.py:0:20
	s_or_b32 exec_lo, exec_lo, s2
	.loc	1 31 51                         ; matmul.py:31:51
	v_or_b32_e32 v145, 8, v255
	v_mov_b32_e32 v146, 0
	s_delay_alu instid0(VALU_DEP_2)
	v_cmp_gt_i32_e32 vcc_lo, s12, v145
	v_mov_b32_e32 v145, 0
	.loc	1 31 20                         ; matmul.py:31:20
	s_and_saveexec_b32 s2, vcc_lo
	;; [unrolled: 38-line block ×7, first 2 shown]
	s_cbranch_execz .LBB0_290
; %bb.289:                              ;   in Loop: Header=BB0_196 Depth=1
	.loc	1 34 18 is_stmt 1               ; matmul.py:34:18
	v_add_co_u32 v156, vcc_lo, s8, v221
	s_delay_alu instid0(VALU_DEP_1)
	v_add_co_ci_u32_e64 v157, null, s9, v222, vcc_lo
	.loc	1 31 20                         ; matmul.py:31:20
	global_load_u16 v156, v[156:157], off
.LBB0_290:                              ;   in Loop: Header=BB0_196 Depth=1
	.loc	1 0 20 is_stmt 0                ; matmul.py:0:20
	s_or_b32 exec_lo, exec_lo, s2
	.loc	1 31 51                         ; matmul.py:31:51
	v_or_b32_e32 v157, 30, v255
	.loc	1 31 20                         ; matmul.py:31:20
	s_mov_b32 s2, exec_lo
	s_delay_alu instid0(VALU_DEP_1)
	.loc	1 31 51                         ; matmul.py:31:51
	v_cmpx_gt_i32_e64 s12, v157
	.loc	1 31 20                         ; matmul.py:31:20
	s_cbranch_execz .LBB0_195
; %bb.291:                              ;   in Loop: Header=BB0_196 Depth=1
	.loc	1 29 22 is_stmt 1               ; matmul.py:29:22
	v_add_co_u32 v157, vcc_lo, s8, v223
	s_delay_alu instid0(VALU_DEP_1)
	v_add_co_ci_u32_e64 v158, null, s9, v224, vcc_lo
	.loc	1 31 20                         ; matmul.py:31:20
	global_load_u16 v155, v[157:158], off
	s_branch .LBB0_195
.LBB0_292:                              ; %Flow429
	.loc	1 0 20 is_stmt 0                ; matmul.py:0:20
	s_load_b64 s[22:23], s[0:1], 0x34
	v_and_b32_e32 v98, 64, v0
	v_and_b32_e32 v162, 32, v0
	.loc	1 32 35 is_stmt 1               ; matmul.py:32:35
	s_and_not1_b32 vcc_lo, exec_lo, s24
	.loc	1 30 20                         ; matmul.py:30:20
	s_waitcnt lgkmcnt(0)
	s_waitcnt_vscnt null, 0x0
	s_barrier
	buffer_gl0_inv
	.loc	1 32 35                         ; matmul.py:32:35
	s_cbranch_vccnz .LBB0_294
; %bb.293:
	.loc	1 31 20                         ; matmul.py:31:20
	v_add_nc_u32_e32 v65, 0, v162
	v_and_b32_e32 v161, 15, v0
	.loc	1 30 20                         ; matmul.py:30:20
	v_lshlrev_b32_e32 v97, 3, v0
	v_lshlrev_b32_e32 v98, 4, v98
	s_delay_alu instid0(VALU_DEP_3) | instskip(SKIP_1) | instid1(VALU_DEP_4)
	.loc	1 31 20                         ; matmul.py:31:20
	v_lshl_add_u32 v113, v161, 1, v65
	.loc	1 30 20                         ; matmul.py:30:20
	v_lshlrev_b32_e32 v99, 6, v161
	v_and_b32_e32 v97, 48, v97
	.loc	1 31 20                         ; matmul.py:31:20
	ds_load_u16 v69, v113 offset:9216
	ds_load_u16 v76, v113 offset:9024
	;; [unrolled: 1-line block ×19, first 2 shown]
	s_waitcnt lgkmcnt(18)
	ds_load_u16_d16_hi v69, v113 offset:9344
	ds_load_u16 v68, v113 offset:8960
	ds_load_u16 v80, v113 offset:10048
	;; [unrolled: 1-line block ×6, first 2 shown]
	.loc	1 30 20                         ; matmul.py:30:20
	v_or3_b32 v97, v99, v97, v98
	.loc	1 31 20                         ; matmul.py:31:20
	s_waitcnt lgkmcnt(19)
	ds_load_u16_d16_hi v92, v113 offset:11136
	s_waitcnt lgkmcnt(19)
	ds_load_u16_d16_hi v83, v113 offset:10944
	ds_load_u16_d16_hi v88, v113 offset:12224
	ds_load_u16 v96, v113 offset:12032
	ds_load_u16 v95, v113 offset:11776
	s_waitcnt lgkmcnt(19)
	ds_load_u16_d16_hi v93, v113 offset:11392
	ds_load_u16_d16_hi v84, v113 offset:11200
	;; [unrolled: 1-line block ×4, first 2 shown]
	ds_load_u16 v67, v113 offset:8704
	ds_load_u16 v65, v113 offset:8192
	s_waitcnt lgkmcnt(20)
	ds_load_u16_d16_hi v94, v113 offset:11648
	ds_load_u16_d16_hi v85, v113 offset:11456
	ds_load_u16 v72, v113 offset:9984
	s_waitcnt lgkmcnt(19)
	ds_load_u16_d16_hi v68, v113 offset:9088
	ds_load_u16 v91, v113 offset:10752
	ds_load_u16 v90, v113 offset:10496
	ds_load_u16_d16_hi v71, v113 offset:9856
	ds_load_u16_d16_hi v78, v113 offset:9664
	;; [unrolled: 1-line block ×3, first 2 shown]
	s_waitcnt lgkmcnt(20)
	ds_load_u16_d16_hi v66, v113 offset:8576
	ds_load_u16_d16_hi v73, v113 offset:8384
	.loc	1 30 20                         ; matmul.py:30:20
	v_xad_u32 v137, v97, 16, 0
	v_add_nc_u32_e32 v138, 0, v97
	v_xad_u32 v153, v97, 48, 0
	v_xad_u32 v154, v97, 32, 0
	.loc	1 31 20                         ; matmul.py:31:20
	ds_load_u16_d16_hi v87, v113 offset:11968
	ds_load_u16_d16_hi v86, v113 offset:11712
	s_waitcnt lgkmcnt(20)
	ds_load_u16_d16_hi v96, v113 offset:12160
	s_waitcnt lgkmcnt(20)
	ds_load_u16_d16_hi v95, v113 offset:11904
	ds_load_u16_d16_hi v89, v113 offset:10368
	;; [unrolled: 1-line block ×4, first 2 shown]
	s_waitcnt lgkmcnt(15)
	ds_load_u16_d16_hi v72, v113 offset:10112
	ds_load_u16_d16_hi v75, v113 offset:8896
	;; [unrolled: 1-line block ×5, first 2 shown]
	.loc	1 30 20                         ; matmul.py:30:20
	ds_load_b128 v[101:104], v137 offset:2048
	ds_load_b128 v[109:112], v137
	ds_load_b128 v[97:100], v138 offset:2048
	ds_load_b128 v[105:108], v138
	.loc	1 31 20                         ; matmul.py:31:20
	ds_load_u16_d16_hi v82, v113 offset:10688
	ds_load_u16_d16_hi v81, v113 offset:10432
	s_waitcnt lgkmcnt(24)
	ds_load_u16_d16_hi v91, v113 offset:10880
	s_waitcnt lgkmcnt(24)
	ds_load_u16_d16_hi v90, v113 offset:10624
	.loc	1 30 20                         ; matmul.py:30:20
	ds_load_b128 v[113:116], v154
	ds_load_b128 v[117:120], v153
	ds_load_b128 v[125:128], v153 offset:2048
	ds_load_b128 v[121:124], v154 offset:2048
	;; [unrolled: 1-line block ×10, first 2 shown]
	.loc	1 32 35                         ; matmul.py:32:35
	s_waitcnt lgkmcnt(16)
	v_wmma_f32_16x16x16_bf16 v[49:56], v[73:80], v[105:112], v[49:56]
	v_wmma_f32_16x16x16_bf16 v[33:40], v[73:80], v[97:104], v[33:40]
	;; [unrolled: 1-line block ×4, first 2 shown]
	s_waitcnt lgkmcnt(6)
	v_wmma_f32_16x16x16_bf16 v[25:32], v[65:72], v[129:136], v[25:32]
	v_wmma_f32_16x16x16_bf16 v[17:24], v[73:80], v[129:136], v[17:24]
	s_waitcnt lgkmcnt(4)
	v_wmma_f32_16x16x16_bf16 v[9:16], v[65:72], v[137:144], v[9:16]
	v_wmma_f32_16x16x16_bf16 v[1:8], v[73:80], v[137:144], v[1:8]
	;; [unrolled: 1-line block ×5, first 2 shown]
	v_and_b32_e32 v98, 64, v0
	v_wmma_f32_16x16x16_bf16 v[33:40], v[81:88], v[121:128], v[33:40]
	s_waitcnt lgkmcnt(2)
	v_wmma_f32_16x16x16_bf16 v[25:32], v[89:96], v[145:152], v[25:32]
	v_wmma_f32_16x16x16_bf16 v[17:24], v[81:88], v[145:152], v[17:24]
	s_waitcnt lgkmcnt(0)
	v_wmma_f32_16x16x16_bf16 v[9:16], v[89:96], v[153:160], v[9:16]
	v_wmma_f32_16x16x16_bf16 v[1:8], v[81:88], v[153:160], v[1:8]
	s_branch .LBB0_295
.LBB0_294:
	.loc	1 0 35 is_stmt 0                ; matmul.py:0:35
	v_and_b32_e32 v161, 15, v0
.LBB0_295:                              ; %._crit_edge._crit_edge
	.loc	1 23 51 is_stmt 1               ; matmul.py:23:51
	v_bfe_u32 v66, v0, 4, 1
	.loc	1 22 38                         ; matmul.py:22:38
	scratch_load_b32 v0, off, off offset:240 ; 4-byte Folded Reload
	.loc	1 22 51 is_stmt 0               ; matmul.py:22:51
	v_lshrrev_b32_e32 v65, 2, v98
	.loc	1 23 51 is_stmt 1               ; matmul.py:23:51
	v_lshrrev_b32_e32 v67, 1, v162
	.loc	1 22 38                         ; matmul.py:22:38
	s_waitcnt vmcnt(0)
	s_delay_alu instid0(VALU_DEP_2)
	v_or3_b32 v0, v65, v161, v0
	.loc	1 23 38                         ; matmul.py:23:38
	scratch_load_b32 v65, off, off offset:244 ; 4-byte Folded Reload
	.loc	1 40 33                         ; matmul.py:40:33
	v_cmp_gt_i32_e64 s15, s20, v0
	.loc	1 23 38                         ; matmul.py:23:38
	s_waitcnt vmcnt(0)
	v_or3_b32 v81, v66, v67, v65
	.loc	1 39 33                         ; matmul.py:39:33
	v_mul_lo_u32 v65, v0, s22
	s_delay_alu instid0(VALU_DEP_2) | instskip(SKIP_1) | instid1(VALU_DEP_3)
	.loc	1 39 64 is_stmt 0               ; matmul.py:39:64
	v_mul_lo_u32 v67, v81, s23
	.loc	1 40 58 is_stmt 1               ; matmul.py:40:58
	v_cmp_gt_i32_e32 vcc_lo, s21, v81
	.loc	1 39 21                         ; matmul.py:39:21
	v_ashrrev_i32_e32 v66, 31, v65
	s_delay_alu instid0(VALU_DEP_3) | instskip(NEXT) | instid1(VALU_DEP_2)
	.loc	1 39 52 is_stmt 0               ; matmul.py:39:52
	v_ashrrev_i32_e32 v68, 31, v67
	.loc	1 39 21                         ; matmul.py:39:21
	v_lshlrev_b64 v[69:70], 1, v[65:66]
	s_delay_alu instid0(VALU_DEP_2) | instskip(NEXT) | instid1(VALU_DEP_2)
	v_lshlrev_b64 v[65:66], 1, v[67:68]
	v_add_co_u32 v83, s0, s18, v69
	s_delay_alu instid0(VALU_DEP_1) | instskip(SKIP_1) | instid1(SALU_CYCLE_1)
	v_add_co_ci_u32_e64 v84, null, s19, v70, s0
	.loc	1 40 39 is_stmt 1               ; matmul.py:40:39
	s_and_b32 s0, s15, vcc_lo
	.loc	1 41 21                         ; matmul.py:41:21
	s_and_saveexec_b32 s1, s0
	s_cbranch_execz .LBB0_297
; %bb.296:
	.loc	1 35 23                         ; matmul.py:35:23
	v_bfe_u32 v67, v57, 16, 1
	v_cmp_o_f32_e64 s0, v57, v57
	s_delay_alu instid0(VALU_DEP_2) | instskip(NEXT) | instid1(VALU_DEP_1)
	v_add3_u32 v67, v57, v67, 0x7fff
	v_lshrrev_b32_e32 v67, 16, v67
	s_delay_alu instid0(VALU_DEP_1) | instskip(SKIP_1) | instid1(VALU_DEP_1)
	v_cndmask_b32_e64 v57, 0x7fff, v67, s0
	.loc	1 39 52                         ; matmul.py:39:52
	v_add_co_u32 v67, s0, v83, v65
	v_add_co_ci_u32_e64 v68, null, v84, v66, s0
	.loc	1 41 21                         ; matmul.py:41:21
	global_store_b16 v[67:68], v57, off
.LBB0_297:
	.loc	1 0 21 is_stmt 0                ; matmul.py:0:21
	s_or_b32 exec_lo, exec_lo, s1
	.loc	1 23 38 is_stmt 1               ; matmul.py:23:38
	v_or_b32_e32 v57, 2, v81
	s_delay_alu instid0(VALU_DEP_1) | instskip(SKIP_3) | instid1(VALU_DEP_1)
	.loc	1 39 64                         ; matmul.py:39:64
	v_mul_lo_u32 v67, s23, v57
	.loc	1 40 58                         ; matmul.py:40:58
	v_cmp_gt_i32_e64 s0, s21, v57
	.loc	1 40 39 is_stmt 0               ; matmul.py:40:39
	s_and_b32 s1, s0, s15
	.loc	1 39 52 is_stmt 1               ; matmul.py:39:52
	v_ashrrev_i32_e32 v68, 31, v67
	v_lshlrev_b64 v[67:68], 1, v[67:68]
	.loc	1 41 21                         ; matmul.py:41:21
	s_and_saveexec_b32 s2, s1
	s_cbranch_execz .LBB0_299
; %bb.298:
	.loc	1 35 23                         ; matmul.py:35:23
	v_bfe_u32 v57, v58, 16, 1
	v_cmp_o_f32_e64 s1, v58, v58
	s_delay_alu instid0(VALU_DEP_2) | instskip(NEXT) | instid1(VALU_DEP_1)
	v_add3_u32 v57, v58, v57, 0x7fff
	v_lshrrev_b32_e32 v57, 16, v57
	s_delay_alu instid0(VALU_DEP_1) | instskip(SKIP_1) | instid1(VALU_DEP_1)
	v_cndmask_b32_e64 v69, 0x7fff, v57, s1
	.loc	1 39 52                         ; matmul.py:39:52
	v_add_co_u32 v57, s1, v83, v67
	v_add_co_ci_u32_e64 v58, null, v84, v68, s1
	.loc	1 41 21                         ; matmul.py:41:21
	global_store_b16 v[57:58], v69, off
.LBB0_299:
	.loc	1 0 21 is_stmt 0                ; matmul.py:0:21
	s_or_b32 exec_lo, exec_lo, s2
	.loc	1 23 38 is_stmt 1               ; matmul.py:23:38
	v_or_b32_e32 v69, 4, v81
	s_delay_alu instid0(VALU_DEP_1) | instskip(SKIP_3) | instid1(VALU_DEP_1)
	.loc	1 39 64                         ; matmul.py:39:64
	v_mul_lo_u32 v57, s23, v69
	.loc	1 40 58                         ; matmul.py:40:58
	v_cmp_gt_i32_e64 s1, s21, v69
	.loc	1 40 39 is_stmt 0               ; matmul.py:40:39
	s_and_b32 s2, s1, s15
	.loc	1 39 52 is_stmt 1               ; matmul.py:39:52
	v_ashrrev_i32_e32 v58, 31, v57
	v_lshlrev_b64 v[57:58], 1, v[57:58]
	;; [unrolled: 32-line block ×15, first 2 shown]
	.loc	1 41 21                         ; matmul.py:41:21
	s_and_saveexec_b32 s16, s15
	s_cbranch_execz .LBB0_327
; %bb.326:
	.loc	1 35 23                         ; matmul.py:35:23
	v_bfe_u32 v55, v56, 16, 1
	v_cmp_o_f32_e64 s15, v56, v56
	s_delay_alu instid0(VALU_DEP_2) | instskip(NEXT) | instid1(VALU_DEP_1)
	v_add3_u32 v55, v56, v55, 0x7fff
	v_lshrrev_b32_e32 v55, 16, v55
	s_delay_alu instid0(VALU_DEP_1) | instskip(SKIP_1) | instid1(VALU_DEP_1)
	v_cndmask_b32_e64 v85, 0x7fff, v55, s15
	.loc	1 39 52                         ; matmul.py:39:52
	v_add_co_u32 v55, s15, v83, v81
	v_add_co_ci_u32_e64 v56, null, v84, v82, s15
	.loc	1 41 21                         ; matmul.py:41:21
	global_store_b16 v[55:56], v85, off
.LBB0_327:
	.loc	1 0 21 is_stmt 0                ; matmul.py:0:21
	s_or_b32 exec_lo, exec_lo, s16
	.loc	1 22 38 is_stmt 1               ; matmul.py:22:38
	v_or_b32_e32 v83, 32, v0
	s_delay_alu instid0(VALU_DEP_1) | instskip(SKIP_1) | instid1(VALU_DEP_2)
	.loc	1 39 33                         ; matmul.py:39:33
	v_mul_lo_u32 v55, s22, v83
	.loc	1 40 33                         ; matmul.py:40:33
	v_cmp_gt_i32_e64 s15, s20, v83
	.loc	1 39 21                         ; matmul.py:39:21
	v_ashrrev_i32_e32 v56, 31, v55
	s_delay_alu instid0(VALU_DEP_1) | instskip(NEXT) | instid1(VALU_DEP_1)
	v_lshlrev_b64 v[55:56], 1, v[55:56]
	v_add_co_u32 v55, s16, s18, v55
	s_delay_alu instid0(VALU_DEP_1) | instskip(SKIP_1) | instid1(SALU_CYCLE_1)
	v_add_co_ci_u32_e64 v56, null, s19, v56, s16
	.loc	1 40 39                         ; matmul.py:40:39
	s_and_b32 s16, s15, vcc_lo
	.loc	1 41 21                         ; matmul.py:41:21
	s_and_saveexec_b32 s17, s16
	s_cbranch_execnz .LBB0_378
; %bb.328:
	.loc	1 0 21 is_stmt 0                ; matmul.py:0:21
	s_or_b32 exec_lo, exec_lo, s17
	.loc	1 40 39 is_stmt 1               ; matmul.py:40:39
	s_and_b32 s16, s15, s0
	s_delay_alu instid0(SALU_CYCLE_1)
	.loc	1 41 21                         ; matmul.py:41:21
	s_and_saveexec_b32 s17, s16
	s_cbranch_execnz .LBB0_379
.LBB0_329:
	.loc	1 0 21 is_stmt 0                ; matmul.py:0:21
	s_or_b32 exec_lo, exec_lo, s17
	.loc	1 40 39 is_stmt 1               ; matmul.py:40:39
	s_and_b32 s16, s15, s1
	s_delay_alu instid0(SALU_CYCLE_1)
	.loc	1 41 21                         ; matmul.py:41:21
	s_and_saveexec_b32 s17, s16
	s_cbranch_execnz .LBB0_380
.LBB0_330:
	.loc	1 0 21 is_stmt 0                ; matmul.py:0:21
	s_or_b32 exec_lo, exec_lo, s17
	.loc	1 40 39 is_stmt 1               ; matmul.py:40:39
	s_and_b32 s16, s15, s2
	s_delay_alu instid0(SALU_CYCLE_1)
	.loc	1 41 21                         ; matmul.py:41:21
	s_and_saveexec_b32 s17, s16
	s_cbranch_execnz .LBB0_381
.LBB0_331:
	.loc	1 0 21 is_stmt 0                ; matmul.py:0:21
	s_or_b32 exec_lo, exec_lo, s17
	.loc	1 40 39 is_stmt 1               ; matmul.py:40:39
	s_and_b32 s16, s15, s3
	s_delay_alu instid0(SALU_CYCLE_1)
	.loc	1 41 21                         ; matmul.py:41:21
	s_and_saveexec_b32 s17, s16
	s_cbranch_execnz .LBB0_382
.LBB0_332:
	.loc	1 0 21 is_stmt 0                ; matmul.py:0:21
	s_or_b32 exec_lo, exec_lo, s17
	.loc	1 40 39 is_stmt 1               ; matmul.py:40:39
	s_and_b32 s16, s15, s4
	s_delay_alu instid0(SALU_CYCLE_1)
	.loc	1 41 21                         ; matmul.py:41:21
	s_and_saveexec_b32 s17, s16
	s_cbranch_execnz .LBB0_383
.LBB0_333:
	.loc	1 0 21 is_stmt 0                ; matmul.py:0:21
	s_or_b32 exec_lo, exec_lo, s17
	.loc	1 40 39 is_stmt 1               ; matmul.py:40:39
	s_and_b32 s16, s15, s5
	s_delay_alu instid0(SALU_CYCLE_1)
	.loc	1 41 21                         ; matmul.py:41:21
	s_and_saveexec_b32 s17, s16
	s_cbranch_execnz .LBB0_384
.LBB0_334:
	.loc	1 0 21 is_stmt 0                ; matmul.py:0:21
	s_or_b32 exec_lo, exec_lo, s17
	.loc	1 40 39 is_stmt 1               ; matmul.py:40:39
	s_and_b32 s16, s15, s6
	s_delay_alu instid0(SALU_CYCLE_1)
	.loc	1 41 21                         ; matmul.py:41:21
	s_and_saveexec_b32 s17, s16
	s_cbranch_execnz .LBB0_385
.LBB0_335:
	.loc	1 0 21 is_stmt 0                ; matmul.py:0:21
	s_or_b32 exec_lo, exec_lo, s17
	.loc	1 40 39 is_stmt 1               ; matmul.py:40:39
	s_and_b32 s16, s15, s7
	s_delay_alu instid0(SALU_CYCLE_1)
	.loc	1 41 21                         ; matmul.py:41:21
	s_and_saveexec_b32 s17, s16
	s_cbranch_execnz .LBB0_386
.LBB0_336:
	.loc	1 0 21 is_stmt 0                ; matmul.py:0:21
	s_or_b32 exec_lo, exec_lo, s17
	.loc	1 40 39 is_stmt 1               ; matmul.py:40:39
	s_and_b32 s16, s15, s8
	s_delay_alu instid0(SALU_CYCLE_1)
	.loc	1 41 21                         ; matmul.py:41:21
	s_and_saveexec_b32 s17, s16
	s_cbranch_execnz .LBB0_387
.LBB0_337:
	.loc	1 0 21 is_stmt 0                ; matmul.py:0:21
	s_or_b32 exec_lo, exec_lo, s17
	.loc	1 40 39 is_stmt 1               ; matmul.py:40:39
	s_and_b32 s16, s15, s9
	s_delay_alu instid0(SALU_CYCLE_1)
	.loc	1 41 21                         ; matmul.py:41:21
	s_and_saveexec_b32 s17, s16
	s_cbranch_execnz .LBB0_388
.LBB0_338:
	.loc	1 0 21 is_stmt 0                ; matmul.py:0:21
	s_or_b32 exec_lo, exec_lo, s17
	.loc	1 40 39 is_stmt 1               ; matmul.py:40:39
	s_and_b32 s16, s15, s10
	s_delay_alu instid0(SALU_CYCLE_1)
	.loc	1 41 21                         ; matmul.py:41:21
	s_and_saveexec_b32 s17, s16
	s_cbranch_execnz .LBB0_389
.LBB0_339:
	.loc	1 0 21 is_stmt 0                ; matmul.py:0:21
	s_or_b32 exec_lo, exec_lo, s17
	.loc	1 40 39 is_stmt 1               ; matmul.py:40:39
	s_and_b32 s16, s15, s11
	s_delay_alu instid0(SALU_CYCLE_1)
	.loc	1 41 21                         ; matmul.py:41:21
	s_and_saveexec_b32 s17, s16
	s_cbranch_execnz .LBB0_390
.LBB0_340:
	.loc	1 0 21 is_stmt 0                ; matmul.py:0:21
	s_or_b32 exec_lo, exec_lo, s17
	.loc	1 40 39 is_stmt 1               ; matmul.py:40:39
	s_and_b32 s16, s15, s12
	s_delay_alu instid0(SALU_CYCLE_1)
	.loc	1 41 21                         ; matmul.py:41:21
	s_and_saveexec_b32 s17, s16
	s_cbranch_execnz .LBB0_391
.LBB0_341:
	.loc	1 0 21 is_stmt 0                ; matmul.py:0:21
	s_or_b32 exec_lo, exec_lo, s17
	.loc	1 40 39 is_stmt 1               ; matmul.py:40:39
	s_and_b32 s16, s15, s13
	s_delay_alu instid0(SALU_CYCLE_1)
	.loc	1 41 21                         ; matmul.py:41:21
	s_and_saveexec_b32 s17, s16
	s_cbranch_execnz .LBB0_392
.LBB0_342:
	.loc	1 0 21 is_stmt 0                ; matmul.py:0:21
	s_or_b32 exec_lo, exec_lo, s17
	.loc	1 40 39 is_stmt 1               ; matmul.py:40:39
	s_and_b32 s15, s15, s14
	s_delay_alu instid0(SALU_CYCLE_1)
	.loc	1 41 21                         ; matmul.py:41:21
	s_and_saveexec_b32 s16, s15
	s_cbranch_execz .LBB0_344
.LBB0_343:
	.loc	1 35 23                         ; matmul.py:35:23
	v_bfe_u32 v33, v40, 16, 1
	v_cmp_o_f32_e64 s15, v40, v40
	s_delay_alu instid0(VALU_DEP_2) | instskip(NEXT) | instid1(VALU_DEP_1)
	v_add3_u32 v33, v40, v33, 0x7fff
	v_lshrrev_b32_e32 v33, 16, v33
	s_delay_alu instid0(VALU_DEP_1) | instskip(SKIP_1) | instid1(VALU_DEP_1)
	v_cndmask_b32_e64 v35, 0x7fff, v33, s15
	.loc	1 39 52                         ; matmul.py:39:52
	v_add_co_u32 v33, s15, v55, v81
	v_add_co_ci_u32_e64 v34, null, v56, v82, s15
	.loc	1 41 21                         ; matmul.py:41:21
	global_store_b16 v[33:34], v35, off
.LBB0_344:
	.loc	1 0 21 is_stmt 0                ; matmul.py:0:21
	s_or_b32 exec_lo, exec_lo, s16
	.loc	1 22 38 is_stmt 1               ; matmul.py:22:38
	v_or_b32_e32 v35, 64, v0
	s_delay_alu instid0(VALU_DEP_1) | instskip(SKIP_1) | instid1(VALU_DEP_2)
	.loc	1 39 33                         ; matmul.py:39:33
	v_mul_lo_u32 v33, s22, v35
	.loc	1 40 33                         ; matmul.py:40:33
	v_cmp_gt_i32_e64 s15, s20, v35
	.loc	1 39 21                         ; matmul.py:39:21
	v_ashrrev_i32_e32 v34, 31, v33
	s_delay_alu instid0(VALU_DEP_1) | instskip(NEXT) | instid1(VALU_DEP_1)
	v_lshlrev_b64 v[33:34], 1, v[33:34]
	v_add_co_u32 v33, s16, s18, v33
	s_delay_alu instid0(VALU_DEP_1) | instskip(SKIP_1) | instid1(SALU_CYCLE_1)
	v_add_co_ci_u32_e64 v34, null, s19, v34, s16
	.loc	1 40 39                         ; matmul.py:40:39
	s_and_b32 s16, s15, vcc_lo
	.loc	1 41 21                         ; matmul.py:41:21
	s_and_saveexec_b32 s17, s16
	s_cbranch_execnz .LBB0_393
; %bb.345:
	.loc	1 0 21 is_stmt 0                ; matmul.py:0:21
	s_or_b32 exec_lo, exec_lo, s17
	.loc	1 40 39 is_stmt 1               ; matmul.py:40:39
	s_and_b32 s16, s15, s0
	s_delay_alu instid0(SALU_CYCLE_1)
	.loc	1 41 21                         ; matmul.py:41:21
	s_and_saveexec_b32 s17, s16
	s_cbranch_execnz .LBB0_394
.LBB0_346:
	.loc	1 0 21 is_stmt 0                ; matmul.py:0:21
	s_or_b32 exec_lo, exec_lo, s17
	.loc	1 40 39 is_stmt 1               ; matmul.py:40:39
	s_and_b32 s16, s15, s1
	s_delay_alu instid0(SALU_CYCLE_1)
	.loc	1 41 21                         ; matmul.py:41:21
	s_and_saveexec_b32 s17, s16
	s_cbranch_execnz .LBB0_395
.LBB0_347:
	.loc	1 0 21 is_stmt 0                ; matmul.py:0:21
	s_or_b32 exec_lo, exec_lo, s17
	.loc	1 40 39 is_stmt 1               ; matmul.py:40:39
	s_and_b32 s16, s15, s2
	s_delay_alu instid0(SALU_CYCLE_1)
	.loc	1 41 21                         ; matmul.py:41:21
	s_and_saveexec_b32 s17, s16
	s_cbranch_execnz .LBB0_396
.LBB0_348:
	.loc	1 0 21 is_stmt 0                ; matmul.py:0:21
	s_or_b32 exec_lo, exec_lo, s17
	.loc	1 40 39 is_stmt 1               ; matmul.py:40:39
	s_and_b32 s16, s15, s3
	s_delay_alu instid0(SALU_CYCLE_1)
	.loc	1 41 21                         ; matmul.py:41:21
	s_and_saveexec_b32 s17, s16
	s_cbranch_execnz .LBB0_397
.LBB0_349:
	.loc	1 0 21 is_stmt 0                ; matmul.py:0:21
	s_or_b32 exec_lo, exec_lo, s17
	.loc	1 40 39 is_stmt 1               ; matmul.py:40:39
	s_and_b32 s16, s15, s4
	s_delay_alu instid0(SALU_CYCLE_1)
	.loc	1 41 21                         ; matmul.py:41:21
	s_and_saveexec_b32 s17, s16
	s_cbranch_execnz .LBB0_398
.LBB0_350:
	.loc	1 0 21 is_stmt 0                ; matmul.py:0:21
	s_or_b32 exec_lo, exec_lo, s17
	.loc	1 40 39 is_stmt 1               ; matmul.py:40:39
	s_and_b32 s16, s15, s5
	s_delay_alu instid0(SALU_CYCLE_1)
	.loc	1 41 21                         ; matmul.py:41:21
	s_and_saveexec_b32 s17, s16
	s_cbranch_execnz .LBB0_399
.LBB0_351:
	.loc	1 0 21 is_stmt 0                ; matmul.py:0:21
	s_or_b32 exec_lo, exec_lo, s17
	.loc	1 40 39 is_stmt 1               ; matmul.py:40:39
	s_and_b32 s16, s15, s6
	s_delay_alu instid0(SALU_CYCLE_1)
	.loc	1 41 21                         ; matmul.py:41:21
	s_and_saveexec_b32 s17, s16
	s_cbranch_execnz .LBB0_400
.LBB0_352:
	.loc	1 0 21 is_stmt 0                ; matmul.py:0:21
	s_or_b32 exec_lo, exec_lo, s17
	.loc	1 40 39 is_stmt 1               ; matmul.py:40:39
	s_and_b32 s16, s15, s7
	s_delay_alu instid0(SALU_CYCLE_1)
	.loc	1 41 21                         ; matmul.py:41:21
	s_and_saveexec_b32 s17, s16
	s_cbranch_execnz .LBB0_401
.LBB0_353:
	.loc	1 0 21 is_stmt 0                ; matmul.py:0:21
	s_or_b32 exec_lo, exec_lo, s17
	.loc	1 40 39 is_stmt 1               ; matmul.py:40:39
	s_and_b32 s16, s15, s8
	s_delay_alu instid0(SALU_CYCLE_1)
	.loc	1 41 21                         ; matmul.py:41:21
	s_and_saveexec_b32 s17, s16
	s_cbranch_execnz .LBB0_402
.LBB0_354:
	.loc	1 0 21 is_stmt 0                ; matmul.py:0:21
	s_or_b32 exec_lo, exec_lo, s17
	.loc	1 40 39 is_stmt 1               ; matmul.py:40:39
	s_and_b32 s16, s15, s9
	s_delay_alu instid0(SALU_CYCLE_1)
	.loc	1 41 21                         ; matmul.py:41:21
	s_and_saveexec_b32 s17, s16
	s_cbranch_execnz .LBB0_403
.LBB0_355:
	.loc	1 0 21 is_stmt 0                ; matmul.py:0:21
	s_or_b32 exec_lo, exec_lo, s17
	.loc	1 40 39 is_stmt 1               ; matmul.py:40:39
	s_and_b32 s16, s15, s10
	s_delay_alu instid0(SALU_CYCLE_1)
	.loc	1 41 21                         ; matmul.py:41:21
	s_and_saveexec_b32 s17, s16
	s_cbranch_execnz .LBB0_404
.LBB0_356:
	.loc	1 0 21 is_stmt 0                ; matmul.py:0:21
	s_or_b32 exec_lo, exec_lo, s17
	.loc	1 40 39 is_stmt 1               ; matmul.py:40:39
	s_and_b32 s16, s15, s11
	s_delay_alu instid0(SALU_CYCLE_1)
	.loc	1 41 21                         ; matmul.py:41:21
	s_and_saveexec_b32 s17, s16
	s_cbranch_execnz .LBB0_405
.LBB0_357:
	.loc	1 0 21 is_stmt 0                ; matmul.py:0:21
	s_or_b32 exec_lo, exec_lo, s17
	.loc	1 40 39 is_stmt 1               ; matmul.py:40:39
	s_and_b32 s16, s15, s12
	s_delay_alu instid0(SALU_CYCLE_1)
	.loc	1 41 21                         ; matmul.py:41:21
	s_and_saveexec_b32 s17, s16
	s_cbranch_execnz .LBB0_406
.LBB0_358:
	.loc	1 0 21 is_stmt 0                ; matmul.py:0:21
	s_or_b32 exec_lo, exec_lo, s17
	.loc	1 40 39 is_stmt 1               ; matmul.py:40:39
	s_and_b32 s16, s15, s13
	s_delay_alu instid0(SALU_CYCLE_1)
	.loc	1 41 21                         ; matmul.py:41:21
	s_and_saveexec_b32 s17, s16
	s_cbranch_execnz .LBB0_407
.LBB0_359:
	.loc	1 0 21 is_stmt 0                ; matmul.py:0:21
	s_or_b32 exec_lo, exec_lo, s17
	.loc	1 40 39 is_stmt 1               ; matmul.py:40:39
	s_and_b32 s15, s15, s14
	s_delay_alu instid0(SALU_CYCLE_1)
	.loc	1 41 21                         ; matmul.py:41:21
	s_and_saveexec_b32 s16, s15
	s_cbranch_execz .LBB0_361
.LBB0_360:
	.loc	1 35 23                         ; matmul.py:35:23
	v_bfe_u32 v17, v24, 16, 1
	v_cmp_o_f32_e64 s15, v24, v24
	s_delay_alu instid0(VALU_DEP_2) | instskip(NEXT) | instid1(VALU_DEP_1)
	v_add3_u32 v17, v24, v17, 0x7fff
	v_lshrrev_b32_e32 v17, 16, v17
	s_delay_alu instid0(VALU_DEP_1) | instskip(SKIP_1) | instid1(VALU_DEP_1)
	v_cndmask_b32_e64 v19, 0x7fff, v17, s15
	.loc	1 39 52                         ; matmul.py:39:52
	v_add_co_u32 v17, s15, v33, v81
	v_add_co_ci_u32_e64 v18, null, v34, v82, s15
	.loc	1 41 21                         ; matmul.py:41:21
	global_store_b16 v[17:18], v19, off
.LBB0_361:
	.loc	1 0 21 is_stmt 0                ; matmul.py:0:21
	s_or_b32 exec_lo, exec_lo, s16
	.loc	1 22 38 is_stmt 1               ; matmul.py:22:38
	v_or_b32_e32 v0, 0x60, v0
	s_delay_alu instid0(VALU_DEP_1) | instskip(SKIP_3) | instid1(VALU_DEP_1)
	.loc	1 39 33                         ; matmul.py:39:33
	v_mul_lo_u32 v17, s22, v0
	.loc	1 40 33                         ; matmul.py:40:33
	v_cmp_gt_i32_e64 s15, s20, v0
	.loc	1 40 39 is_stmt 0               ; matmul.py:40:39
	s_and_b32 s17, s15, vcc_lo
	.loc	1 39 21 is_stmt 1               ; matmul.py:39:21
	v_ashrrev_i32_e32 v18, 31, v17
	v_lshlrev_b64 v[17:18], 1, v[17:18]
	s_delay_alu instid0(VALU_DEP_1) | instskip(NEXT) | instid1(VALU_DEP_1)
	v_add_co_u32 v0, s16, s18, v17
	v_add_co_ci_u32_e64 v17, null, s19, v18, s16
	.loc	1 41 21                         ; matmul.py:41:21
	s_and_saveexec_b32 s16, s17
	s_cbranch_execnz .LBB0_408
; %bb.362:
	.loc	1 0 21 is_stmt 0                ; matmul.py:0:21
	s_or_b32 exec_lo, exec_lo, s16
	.loc	1 40 39 is_stmt 1               ; matmul.py:40:39
	s_and_b32 s16, s15, s0
	s_delay_alu instid0(SALU_CYCLE_1)
	.loc	1 41 21                         ; matmul.py:41:21
	s_and_saveexec_b32 s0, s16
	s_cbranch_execnz .LBB0_409
.LBB0_363:
	.loc	1 0 21 is_stmt 0                ; matmul.py:0:21
	s_or_b32 exec_lo, exec_lo, s0
	.loc	1 40 39 is_stmt 1               ; matmul.py:40:39
	s_and_b32 s1, s15, s1
	s_delay_alu instid0(SALU_CYCLE_1)
	.loc	1 41 21                         ; matmul.py:41:21
	s_and_saveexec_b32 s0, s1
	s_cbranch_execnz .LBB0_410
.LBB0_364:
	.loc	1 0 21 is_stmt 0                ; matmul.py:0:21
	s_or_b32 exec_lo, exec_lo, s0
	.loc	1 40 39 is_stmt 1               ; matmul.py:40:39
	s_and_b32 s1, s15, s2
	s_delay_alu instid0(SALU_CYCLE_1)
	.loc	1 41 21                         ; matmul.py:41:21
	s_and_saveexec_b32 s0, s1
	s_cbranch_execnz .LBB0_411
.LBB0_365:
	.loc	1 0 21 is_stmt 0                ; matmul.py:0:21
	s_or_b32 exec_lo, exec_lo, s0
	.loc	1 40 39 is_stmt 1               ; matmul.py:40:39
	s_and_b32 s1, s15, s3
	s_delay_alu instid0(SALU_CYCLE_1)
	.loc	1 41 21                         ; matmul.py:41:21
	s_and_saveexec_b32 s0, s1
	s_cbranch_execnz .LBB0_412
.LBB0_366:
	.loc	1 0 21 is_stmt 0                ; matmul.py:0:21
	s_or_b32 exec_lo, exec_lo, s0
	.loc	1 40 39 is_stmt 1               ; matmul.py:40:39
	s_and_b32 s1, s15, s4
	s_delay_alu instid0(SALU_CYCLE_1)
	.loc	1 41 21                         ; matmul.py:41:21
	s_and_saveexec_b32 s0, s1
	s_cbranch_execnz .LBB0_413
.LBB0_367:
	.loc	1 0 21 is_stmt 0                ; matmul.py:0:21
	s_or_b32 exec_lo, exec_lo, s0
	.loc	1 40 39 is_stmt 1               ; matmul.py:40:39
	s_and_b32 s1, s15, s5
	s_delay_alu instid0(SALU_CYCLE_1)
	.loc	1 41 21                         ; matmul.py:41:21
	s_and_saveexec_b32 s0, s1
	s_cbranch_execnz .LBB0_414
.LBB0_368:
	.loc	1 0 21 is_stmt 0                ; matmul.py:0:21
	s_or_b32 exec_lo, exec_lo, s0
	.loc	1 40 39 is_stmt 1               ; matmul.py:40:39
	s_and_b32 s1, s15, s6
	s_delay_alu instid0(SALU_CYCLE_1)
	.loc	1 41 21                         ; matmul.py:41:21
	s_and_saveexec_b32 s0, s1
	s_cbranch_execnz .LBB0_415
.LBB0_369:
	.loc	1 0 21 is_stmt 0                ; matmul.py:0:21
	s_or_b32 exec_lo, exec_lo, s0
	.loc	1 40 39 is_stmt 1               ; matmul.py:40:39
	s_and_b32 s1, s15, s7
	s_delay_alu instid0(SALU_CYCLE_1)
	.loc	1 41 21                         ; matmul.py:41:21
	s_and_saveexec_b32 s0, s1
	s_cbranch_execnz .LBB0_416
.LBB0_370:
	.loc	1 0 21 is_stmt 0                ; matmul.py:0:21
	s_or_b32 exec_lo, exec_lo, s0
	.loc	1 40 39 is_stmt 1               ; matmul.py:40:39
	s_and_b32 s1, s15, s8
	s_delay_alu instid0(SALU_CYCLE_1)
	.loc	1 41 21                         ; matmul.py:41:21
	s_and_saveexec_b32 s0, s1
	s_cbranch_execnz .LBB0_417
.LBB0_371:
	.loc	1 0 21 is_stmt 0                ; matmul.py:0:21
	s_or_b32 exec_lo, exec_lo, s0
	.loc	1 40 39 is_stmt 1               ; matmul.py:40:39
	s_and_b32 s1, s15, s9
	s_delay_alu instid0(SALU_CYCLE_1)
	.loc	1 41 21                         ; matmul.py:41:21
	s_and_saveexec_b32 s0, s1
	s_cbranch_execnz .LBB0_418
.LBB0_372:
	.loc	1 0 21 is_stmt 0                ; matmul.py:0:21
	s_or_b32 exec_lo, exec_lo, s0
	.loc	1 40 39 is_stmt 1               ; matmul.py:40:39
	s_and_b32 s1, s15, s10
	s_delay_alu instid0(SALU_CYCLE_1)
	.loc	1 41 21                         ; matmul.py:41:21
	s_and_saveexec_b32 s0, s1
	s_cbranch_execnz .LBB0_419
.LBB0_373:
	.loc	1 0 21 is_stmt 0                ; matmul.py:0:21
	s_or_b32 exec_lo, exec_lo, s0
	.loc	1 40 39 is_stmt 1               ; matmul.py:40:39
	s_and_b32 s1, s15, s11
	s_delay_alu instid0(SALU_CYCLE_1)
	.loc	1 41 21                         ; matmul.py:41:21
	s_and_saveexec_b32 s0, s1
	s_cbranch_execnz .LBB0_420
.LBB0_374:
	.loc	1 0 21 is_stmt 0                ; matmul.py:0:21
	s_or_b32 exec_lo, exec_lo, s0
	.loc	1 40 39 is_stmt 1               ; matmul.py:40:39
	s_and_b32 s1, s15, s12
	s_delay_alu instid0(SALU_CYCLE_1)
	.loc	1 41 21                         ; matmul.py:41:21
	s_and_saveexec_b32 s0, s1
	s_cbranch_execnz .LBB0_421
.LBB0_375:
	.loc	1 0 21 is_stmt 0                ; matmul.py:0:21
	s_or_b32 exec_lo, exec_lo, s0
	.loc	1 40 39 is_stmt 1               ; matmul.py:40:39
	s_and_b32 s1, s15, s13
	s_delay_alu instid0(SALU_CYCLE_1)
	.loc	1 41 21                         ; matmul.py:41:21
	s_and_saveexec_b32 s0, s1
	s_cbranch_execnz .LBB0_422
.LBB0_376:
	.loc	1 0 21 is_stmt 0                ; matmul.py:0:21
	s_or_b32 exec_lo, exec_lo, s0
	.loc	1 40 39 is_stmt 1               ; matmul.py:40:39
	s_and_b32 s0, s15, s14
	s_delay_alu instid0(SALU_CYCLE_1)
	.loc	1 41 21                         ; matmul.py:41:21
	s_and_saveexec_b32 s1, s0
	s_cbranch_execnz .LBB0_423
.LBB0_377:
	.loc	1 41 4 is_stmt 0                ; matmul.py:41:4
	s_nop 0
	s_sendmsg sendmsg(MSG_DEALLOC_VGPRS)
	s_endpgm
.LBB0_378:
	.loc	1 35 23 is_stmt 1               ; matmul.py:35:23
	v_bfe_u32 v83, v41, 16, 1
	v_cmp_o_f32_e64 s16, v41, v41
	s_delay_alu instid0(VALU_DEP_2) | instskip(NEXT) | instid1(VALU_DEP_1)
	v_add3_u32 v83, v41, v83, 0x7fff
	v_lshrrev_b32_e32 v83, 16, v83
	s_delay_alu instid0(VALU_DEP_1) | instskip(SKIP_1) | instid1(VALU_DEP_1)
	v_cndmask_b32_e64 v41, 0x7fff, v83, s16
	.loc	1 39 52                         ; matmul.py:39:52
	v_add_co_u32 v83, s16, v55, v65
	v_add_co_ci_u32_e64 v84, null, v56, v66, s16
	.loc	1 41 21                         ; matmul.py:41:21
	global_store_b16 v[83:84], v41, off
	s_or_b32 exec_lo, exec_lo, s17
	.loc	1 40 39                         ; matmul.py:40:39
	s_and_b32 s16, s15, s0
	s_delay_alu instid0(SALU_CYCLE_1)
	.loc	1 41 21                         ; matmul.py:41:21
	s_and_saveexec_b32 s17, s16
	s_cbranch_execz .LBB0_329
.LBB0_379:
	.loc	1 35 23                         ; matmul.py:35:23
	v_bfe_u32 v41, v42, 16, 1
	v_cmp_o_f32_e64 s16, v42, v42
	s_delay_alu instid0(VALU_DEP_2) | instskip(NEXT) | instid1(VALU_DEP_1)
	v_add3_u32 v41, v42, v41, 0x7fff
	v_lshrrev_b32_e32 v41, 16, v41
	s_delay_alu instid0(VALU_DEP_1) | instskip(SKIP_1) | instid1(VALU_DEP_1)
	v_cndmask_b32_e64 v83, 0x7fff, v41, s16
	.loc	1 39 52                         ; matmul.py:39:52
	v_add_co_u32 v41, s16, v55, v67
	v_add_co_ci_u32_e64 v42, null, v56, v68, s16
	.loc	1 41 21                         ; matmul.py:41:21
	global_store_b16 v[41:42], v83, off
	s_or_b32 exec_lo, exec_lo, s17
	.loc	1 40 39                         ; matmul.py:40:39
	s_and_b32 s16, s15, s1
	s_delay_alu instid0(SALU_CYCLE_1)
	.loc	1 41 21                         ; matmul.py:41:21
	s_and_saveexec_b32 s17, s16
	s_cbranch_execz .LBB0_330
.LBB0_380:
	.loc	1 35 23                         ; matmul.py:35:23
	v_bfe_u32 v41, v43, 16, 1
	v_cmp_o_f32_e64 s16, v43, v43
	s_delay_alu instid0(VALU_DEP_2) | instskip(NEXT) | instid1(VALU_DEP_1)
	v_add3_u32 v41, v43, v41, 0x7fff
	v_lshrrev_b32_e32 v41, 16, v41
	s_delay_alu instid0(VALU_DEP_1) | instskip(SKIP_1) | instid1(VALU_DEP_1)
	v_cndmask_b32_e64 v43, 0x7fff, v41, s16
	.loc	1 39 52                         ; matmul.py:39:52
	v_add_co_u32 v41, s16, v55, v57
	v_add_co_ci_u32_e64 v42, null, v56, v58, s16
	.loc	1 41 21                         ; matmul.py:41:21
	global_store_b16 v[41:42], v43, off
	s_or_b32 exec_lo, exec_lo, s17
	.loc	1 40 39                         ; matmul.py:40:39
	s_and_b32 s16, s15, s2
	s_delay_alu instid0(SALU_CYCLE_1)
	.loc	1 41 21                         ; matmul.py:41:21
	s_and_saveexec_b32 s17, s16
	s_cbranch_execz .LBB0_331
.LBB0_381:
	.loc	1 35 23                         ; matmul.py:35:23
	v_bfe_u32 v41, v44, 16, 1
	v_cmp_o_f32_e64 s16, v44, v44
	s_delay_alu instid0(VALU_DEP_2) | instskip(NEXT) | instid1(VALU_DEP_1)
	v_add3_u32 v41, v44, v41, 0x7fff
	v_lshrrev_b32_e32 v41, 16, v41
	s_delay_alu instid0(VALU_DEP_1) | instskip(SKIP_1) | instid1(VALU_DEP_1)
	v_cndmask_b32_e64 v43, 0x7fff, v41, s16
	.loc	1 39 52                         ; matmul.py:39:52
	v_add_co_u32 v41, s16, v55, v69
	v_add_co_ci_u32_e64 v42, null, v56, v70, s16
	.loc	1 41 21                         ; matmul.py:41:21
	global_store_b16 v[41:42], v43, off
	s_or_b32 exec_lo, exec_lo, s17
	.loc	1 40 39                         ; matmul.py:40:39
	s_and_b32 s16, s15, s3
	s_delay_alu instid0(SALU_CYCLE_1)
	.loc	1 41 21                         ; matmul.py:41:21
	s_and_saveexec_b32 s17, s16
	s_cbranch_execz .LBB0_332
.LBB0_382:
	.loc	1 35 23                         ; matmul.py:35:23
	v_bfe_u32 v41, v45, 16, 1
	v_cmp_o_f32_e64 s16, v45, v45
	s_delay_alu instid0(VALU_DEP_2) | instskip(NEXT) | instid1(VALU_DEP_1)
	v_add3_u32 v41, v45, v41, 0x7fff
	v_lshrrev_b32_e32 v41, 16, v41
	s_delay_alu instid0(VALU_DEP_1) | instskip(SKIP_1) | instid1(VALU_DEP_1)
	v_cndmask_b32_e64 v43, 0x7fff, v41, s16
	.loc	1 39 52                         ; matmul.py:39:52
	v_add_co_u32 v41, s16, v55, v59
	v_add_co_ci_u32_e64 v42, null, v56, v60, s16
	.loc	1 41 21                         ; matmul.py:41:21
	global_store_b16 v[41:42], v43, off
	s_or_b32 exec_lo, exec_lo, s17
	.loc	1 40 39                         ; matmul.py:40:39
	s_and_b32 s16, s15, s4
	s_delay_alu instid0(SALU_CYCLE_1)
	.loc	1 41 21                         ; matmul.py:41:21
	s_and_saveexec_b32 s17, s16
	s_cbranch_execz .LBB0_333
.LBB0_383:
	.loc	1 35 23                         ; matmul.py:35:23
	v_bfe_u32 v41, v46, 16, 1
	v_cmp_o_f32_e64 s16, v46, v46
	s_delay_alu instid0(VALU_DEP_2) | instskip(NEXT) | instid1(VALU_DEP_1)
	v_add3_u32 v41, v46, v41, 0x7fff
	v_lshrrev_b32_e32 v41, 16, v41
	s_delay_alu instid0(VALU_DEP_1) | instskip(SKIP_1) | instid1(VALU_DEP_1)
	v_cndmask_b32_e64 v43, 0x7fff, v41, s16
	.loc	1 39 52                         ; matmul.py:39:52
	v_add_co_u32 v41, s16, v55, v71
	v_add_co_ci_u32_e64 v42, null, v56, v72, s16
	.loc	1 41 21                         ; matmul.py:41:21
	global_store_b16 v[41:42], v43, off
	s_or_b32 exec_lo, exec_lo, s17
	.loc	1 40 39                         ; matmul.py:40:39
	s_and_b32 s16, s15, s5
	s_delay_alu instid0(SALU_CYCLE_1)
	.loc	1 41 21                         ; matmul.py:41:21
	s_and_saveexec_b32 s17, s16
	s_cbranch_execz .LBB0_334
.LBB0_384:
	.loc	1 35 23                         ; matmul.py:35:23
	v_bfe_u32 v41, v47, 16, 1
	v_cmp_o_f32_e64 s16, v47, v47
	s_delay_alu instid0(VALU_DEP_2) | instskip(NEXT) | instid1(VALU_DEP_1)
	v_add3_u32 v41, v47, v41, 0x7fff
	v_lshrrev_b32_e32 v41, 16, v41
	s_delay_alu instid0(VALU_DEP_1) | instskip(SKIP_1) | instid1(VALU_DEP_1)
	v_cndmask_b32_e64 v43, 0x7fff, v41, s16
	.loc	1 39 52                         ; matmul.py:39:52
	v_add_co_u32 v41, s16, v55, v61
	v_add_co_ci_u32_e64 v42, null, v56, v62, s16
	.loc	1 41 21                         ; matmul.py:41:21
	global_store_b16 v[41:42], v43, off
	s_or_b32 exec_lo, exec_lo, s17
	.loc	1 40 39                         ; matmul.py:40:39
	s_and_b32 s16, s15, s6
	s_delay_alu instid0(SALU_CYCLE_1)
	.loc	1 41 21                         ; matmul.py:41:21
	s_and_saveexec_b32 s17, s16
	s_cbranch_execz .LBB0_335
.LBB0_385:
	.loc	1 35 23                         ; matmul.py:35:23
	v_bfe_u32 v41, v48, 16, 1
	v_cmp_o_f32_e64 s16, v48, v48
	s_delay_alu instid0(VALU_DEP_2) | instskip(NEXT) | instid1(VALU_DEP_1)
	v_add3_u32 v41, v48, v41, 0x7fff
	v_lshrrev_b32_e32 v41, 16, v41
	s_delay_alu instid0(VALU_DEP_1) | instskip(SKIP_1) | instid1(VALU_DEP_1)
	v_cndmask_b32_e64 v43, 0x7fff, v41, s16
	.loc	1 39 52                         ; matmul.py:39:52
	v_add_co_u32 v41, s16, v55, v73
	v_add_co_ci_u32_e64 v42, null, v56, v74, s16
	.loc	1 41 21                         ; matmul.py:41:21
	global_store_b16 v[41:42], v43, off
	s_or_b32 exec_lo, exec_lo, s17
	.loc	1 40 39                         ; matmul.py:40:39
	s_and_b32 s16, s15, s7
	s_delay_alu instid0(SALU_CYCLE_1)
	.loc	1 41 21                         ; matmul.py:41:21
	s_and_saveexec_b32 s17, s16
	s_cbranch_execz .LBB0_336
.LBB0_386:
	.loc	1 35 23                         ; matmul.py:35:23
	v_bfe_u32 v41, v33, 16, 1
	v_cmp_o_f32_e64 s16, v33, v33
	s_delay_alu instid0(VALU_DEP_2) | instskip(NEXT) | instid1(VALU_DEP_1)
	v_add3_u32 v41, v33, v41, 0x7fff
	v_lshrrev_b32_e32 v41, 16, v41
	s_delay_alu instid0(VALU_DEP_1) | instskip(SKIP_1) | instid1(VALU_DEP_1)
	v_cndmask_b32_e64 v33, 0x7fff, v41, s16
	.loc	1 39 52                         ; matmul.py:39:52
	v_add_co_u32 v41, s16, v55, v63
	v_add_co_ci_u32_e64 v42, null, v56, v64, s16
	.loc	1 41 21                         ; matmul.py:41:21
	global_store_b16 v[41:42], v33, off
	s_or_b32 exec_lo, exec_lo, s17
	.loc	1 40 39                         ; matmul.py:40:39
	s_and_b32 s16, s15, s8
	s_delay_alu instid0(SALU_CYCLE_1)
	.loc	1 41 21                         ; matmul.py:41:21
	s_and_saveexec_b32 s17, s16
	s_cbranch_execz .LBB0_337
.LBB0_387:
	.loc	1 35 23                         ; matmul.py:35:23
	v_bfe_u32 v33, v34, 16, 1
	v_cmp_o_f32_e64 s16, v34, v34
	s_delay_alu instid0(VALU_DEP_2) | instskip(NEXT) | instid1(VALU_DEP_1)
	v_add3_u32 v33, v34, v33, 0x7fff
	v_lshrrev_b32_e32 v33, 16, v33
	s_delay_alu instid0(VALU_DEP_1) | instskip(SKIP_1) | instid1(VALU_DEP_1)
	v_cndmask_b32_e64 v41, 0x7fff, v33, s16
	.loc	1 39 52                         ; matmul.py:39:52
	v_add_co_u32 v33, s16, v55, v75
	v_add_co_ci_u32_e64 v34, null, v56, v76, s16
	.loc	1 41 21                         ; matmul.py:41:21
	global_store_b16 v[33:34], v41, off
	s_or_b32 exec_lo, exec_lo, s17
	.loc	1 40 39                         ; matmul.py:40:39
	s_and_b32 s16, s15, s9
	s_delay_alu instid0(SALU_CYCLE_1)
	.loc	1 41 21                         ; matmul.py:41:21
	s_and_saveexec_b32 s17, s16
	s_cbranch_execz .LBB0_338
.LBB0_388:
	.loc	1 35 23                         ; matmul.py:35:23
	v_bfe_u32 v33, v35, 16, 1
	v_cmp_o_f32_e64 s16, v35, v35
	s_delay_alu instid0(VALU_DEP_2) | instskip(NEXT) | instid1(VALU_DEP_1)
	v_add3_u32 v33, v35, v33, 0x7fff
	v_lshrrev_b32_e32 v33, 16, v33
	s_delay_alu instid0(VALU_DEP_1) | instskip(SKIP_1) | instid1(VALU_DEP_1)
	v_cndmask_b32_e64 v35, 0x7fff, v33, s16
	.loc	1 39 52                         ; matmul.py:39:52
	v_add_co_u32 v33, s16, v55, v49
	v_add_co_ci_u32_e64 v34, null, v56, v50, s16
	.loc	1 41 21                         ; matmul.py:41:21
	global_store_b16 v[33:34], v35, off
	s_or_b32 exec_lo, exec_lo, s17
	.loc	1 40 39                         ; matmul.py:40:39
	s_and_b32 s16, s15, s10
	s_delay_alu instid0(SALU_CYCLE_1)
	.loc	1 41 21                         ; matmul.py:41:21
	s_and_saveexec_b32 s17, s16
	s_cbranch_execz .LBB0_339
.LBB0_389:
	.loc	1 35 23                         ; matmul.py:35:23
	v_bfe_u32 v33, v36, 16, 1
	v_cmp_o_f32_e64 s16, v36, v36
	s_delay_alu instid0(VALU_DEP_2) | instskip(NEXT) | instid1(VALU_DEP_1)
	v_add3_u32 v33, v36, v33, 0x7fff
	v_lshrrev_b32_e32 v33, 16, v33
	s_delay_alu instid0(VALU_DEP_1) | instskip(SKIP_1) | instid1(VALU_DEP_1)
	v_cndmask_b32_e64 v35, 0x7fff, v33, s16
	.loc	1 39 52                         ; matmul.py:39:52
	v_add_co_u32 v33, s16, v55, v77
	v_add_co_ci_u32_e64 v34, null, v56, v78, s16
	.loc	1 41 21                         ; matmul.py:41:21
	global_store_b16 v[33:34], v35, off
	s_or_b32 exec_lo, exec_lo, s17
	.loc	1 40 39                         ; matmul.py:40:39
	s_and_b32 s16, s15, s11
	s_delay_alu instid0(SALU_CYCLE_1)
	.loc	1 41 21                         ; matmul.py:41:21
	s_and_saveexec_b32 s17, s16
	s_cbranch_execz .LBB0_340
.LBB0_390:
	.loc	1 35 23                         ; matmul.py:35:23
	v_bfe_u32 v33, v37, 16, 1
	v_cmp_o_f32_e64 s16, v37, v37
	s_delay_alu instid0(VALU_DEP_2) | instskip(NEXT) | instid1(VALU_DEP_1)
	v_add3_u32 v33, v37, v33, 0x7fff
	v_lshrrev_b32_e32 v33, 16, v33
	s_delay_alu instid0(VALU_DEP_1) | instskip(SKIP_1) | instid1(VALU_DEP_1)
	v_cndmask_b32_e64 v35, 0x7fff, v33, s16
	.loc	1 39 52                         ; matmul.py:39:52
	v_add_co_u32 v33, s16, v55, v51
	v_add_co_ci_u32_e64 v34, null, v56, v52, s16
	.loc	1 41 21                         ; matmul.py:41:21
	global_store_b16 v[33:34], v35, off
	s_or_b32 exec_lo, exec_lo, s17
	.loc	1 40 39                         ; matmul.py:40:39
	s_and_b32 s16, s15, s12
	s_delay_alu instid0(SALU_CYCLE_1)
	.loc	1 41 21                         ; matmul.py:41:21
	s_and_saveexec_b32 s17, s16
	s_cbranch_execz .LBB0_341
.LBB0_391:
	.loc	1 35 23                         ; matmul.py:35:23
	v_bfe_u32 v33, v38, 16, 1
	v_cmp_o_f32_e64 s16, v38, v38
	s_delay_alu instid0(VALU_DEP_2) | instskip(NEXT) | instid1(VALU_DEP_1)
	v_add3_u32 v33, v38, v33, 0x7fff
	v_lshrrev_b32_e32 v33, 16, v33
	s_delay_alu instid0(VALU_DEP_1) | instskip(SKIP_1) | instid1(VALU_DEP_1)
	v_cndmask_b32_e64 v35, 0x7fff, v33, s16
	.loc	1 39 52                         ; matmul.py:39:52
	v_add_co_u32 v33, s16, v55, v79
	v_add_co_ci_u32_e64 v34, null, v56, v80, s16
	.loc	1 41 21                         ; matmul.py:41:21
	global_store_b16 v[33:34], v35, off
	s_or_b32 exec_lo, exec_lo, s17
	.loc	1 40 39                         ; matmul.py:40:39
	s_and_b32 s16, s15, s13
	s_delay_alu instid0(SALU_CYCLE_1)
	.loc	1 41 21                         ; matmul.py:41:21
	s_and_saveexec_b32 s17, s16
	s_cbranch_execz .LBB0_342
.LBB0_392:
	.loc	1 35 23                         ; matmul.py:35:23
	v_bfe_u32 v33, v39, 16, 1
	v_cmp_o_f32_e64 s16, v39, v39
	s_delay_alu instid0(VALU_DEP_2) | instskip(NEXT) | instid1(VALU_DEP_1)
	v_add3_u32 v33, v39, v33, 0x7fff
	v_lshrrev_b32_e32 v33, 16, v33
	s_delay_alu instid0(VALU_DEP_1) | instskip(SKIP_1) | instid1(VALU_DEP_1)
	v_cndmask_b32_e64 v35, 0x7fff, v33, s16
	.loc	1 39 52                         ; matmul.py:39:52
	v_add_co_u32 v33, s16, v55, v53
	v_add_co_ci_u32_e64 v34, null, v56, v54, s16
	.loc	1 41 21                         ; matmul.py:41:21
	global_store_b16 v[33:34], v35, off
	s_or_b32 exec_lo, exec_lo, s17
	.loc	1 40 39                         ; matmul.py:40:39
	s_and_b32 s15, s15, s14
	s_delay_alu instid0(SALU_CYCLE_1)
	.loc	1 41 21                         ; matmul.py:41:21
	s_and_saveexec_b32 s16, s15
	s_cbranch_execnz .LBB0_343
	s_branch .LBB0_344
.LBB0_393:
	.loc	1 35 23                         ; matmul.py:35:23
	v_bfe_u32 v35, v25, 16, 1
	v_cmp_o_f32_e64 s16, v25, v25
	s_delay_alu instid0(VALU_DEP_2) | instskip(NEXT) | instid1(VALU_DEP_1)
	v_add3_u32 v35, v25, v35, 0x7fff
	v_lshrrev_b32_e32 v35, 16, v35
	s_delay_alu instid0(VALU_DEP_1) | instskip(SKIP_1) | instid1(VALU_DEP_1)
	v_cndmask_b32_e64 v25, 0x7fff, v35, s16
	.loc	1 39 52                         ; matmul.py:39:52
	v_add_co_u32 v35, s16, v33, v65
	v_add_co_ci_u32_e64 v36, null, v34, v66, s16
	.loc	1 41 21                         ; matmul.py:41:21
	global_store_b16 v[35:36], v25, off
	s_or_b32 exec_lo, exec_lo, s17
	.loc	1 40 39                         ; matmul.py:40:39
	s_and_b32 s16, s15, s0
	s_delay_alu instid0(SALU_CYCLE_1)
	.loc	1 41 21                         ; matmul.py:41:21
	s_and_saveexec_b32 s17, s16
	s_cbranch_execz .LBB0_346
.LBB0_394:
	.loc	1 35 23                         ; matmul.py:35:23
	v_bfe_u32 v25, v26, 16, 1
	v_cmp_o_f32_e64 s16, v26, v26
	s_delay_alu instid0(VALU_DEP_2) | instskip(NEXT) | instid1(VALU_DEP_1)
	v_add3_u32 v25, v26, v25, 0x7fff
	v_lshrrev_b32_e32 v25, 16, v25
	s_delay_alu instid0(VALU_DEP_1) | instskip(SKIP_1) | instid1(VALU_DEP_1)
	v_cndmask_b32_e64 v35, 0x7fff, v25, s16
	.loc	1 39 52                         ; matmul.py:39:52
	v_add_co_u32 v25, s16, v33, v67
	v_add_co_ci_u32_e64 v26, null, v34, v68, s16
	.loc	1 41 21                         ; matmul.py:41:21
	global_store_b16 v[25:26], v35, off
	s_or_b32 exec_lo, exec_lo, s17
	.loc	1 40 39                         ; matmul.py:40:39
	s_and_b32 s16, s15, s1
	s_delay_alu instid0(SALU_CYCLE_1)
	.loc	1 41 21                         ; matmul.py:41:21
	s_and_saveexec_b32 s17, s16
	s_cbranch_execz .LBB0_347
.LBB0_395:
	.loc	1 35 23                         ; matmul.py:35:23
	v_bfe_u32 v25, v27, 16, 1
	v_cmp_o_f32_e64 s16, v27, v27
	s_delay_alu instid0(VALU_DEP_2) | instskip(NEXT) | instid1(VALU_DEP_1)
	v_add3_u32 v25, v27, v25, 0x7fff
	v_lshrrev_b32_e32 v25, 16, v25
	s_delay_alu instid0(VALU_DEP_1) | instskip(SKIP_1) | instid1(VALU_DEP_1)
	v_cndmask_b32_e64 v27, 0x7fff, v25, s16
	.loc	1 39 52                         ; matmul.py:39:52
	v_add_co_u32 v25, s16, v33, v57
	v_add_co_ci_u32_e64 v26, null, v34, v58, s16
	.loc	1 41 21                         ; matmul.py:41:21
	global_store_b16 v[25:26], v27, off
	s_or_b32 exec_lo, exec_lo, s17
	.loc	1 40 39                         ; matmul.py:40:39
	s_and_b32 s16, s15, s2
	s_delay_alu instid0(SALU_CYCLE_1)
	.loc	1 41 21                         ; matmul.py:41:21
	s_and_saveexec_b32 s17, s16
	s_cbranch_execz .LBB0_348
.LBB0_396:
	.loc	1 35 23                         ; matmul.py:35:23
	v_bfe_u32 v25, v28, 16, 1
	v_cmp_o_f32_e64 s16, v28, v28
	s_delay_alu instid0(VALU_DEP_2) | instskip(NEXT) | instid1(VALU_DEP_1)
	v_add3_u32 v25, v28, v25, 0x7fff
	v_lshrrev_b32_e32 v25, 16, v25
	s_delay_alu instid0(VALU_DEP_1) | instskip(SKIP_1) | instid1(VALU_DEP_1)
	v_cndmask_b32_e64 v27, 0x7fff, v25, s16
	.loc	1 39 52                         ; matmul.py:39:52
	v_add_co_u32 v25, s16, v33, v69
	v_add_co_ci_u32_e64 v26, null, v34, v70, s16
	.loc	1 41 21                         ; matmul.py:41:21
	global_store_b16 v[25:26], v27, off
	s_or_b32 exec_lo, exec_lo, s17
	.loc	1 40 39                         ; matmul.py:40:39
	s_and_b32 s16, s15, s3
	s_delay_alu instid0(SALU_CYCLE_1)
	.loc	1 41 21                         ; matmul.py:41:21
	s_and_saveexec_b32 s17, s16
	s_cbranch_execz .LBB0_349
.LBB0_397:
	.loc	1 35 23                         ; matmul.py:35:23
	v_bfe_u32 v25, v29, 16, 1
	v_cmp_o_f32_e64 s16, v29, v29
	s_delay_alu instid0(VALU_DEP_2) | instskip(NEXT) | instid1(VALU_DEP_1)
	v_add3_u32 v25, v29, v25, 0x7fff
	v_lshrrev_b32_e32 v25, 16, v25
	s_delay_alu instid0(VALU_DEP_1) | instskip(SKIP_1) | instid1(VALU_DEP_1)
	v_cndmask_b32_e64 v27, 0x7fff, v25, s16
	.loc	1 39 52                         ; matmul.py:39:52
	v_add_co_u32 v25, s16, v33, v59
	v_add_co_ci_u32_e64 v26, null, v34, v60, s16
	.loc	1 41 21                         ; matmul.py:41:21
	global_store_b16 v[25:26], v27, off
	s_or_b32 exec_lo, exec_lo, s17
	.loc	1 40 39                         ; matmul.py:40:39
	s_and_b32 s16, s15, s4
	s_delay_alu instid0(SALU_CYCLE_1)
	.loc	1 41 21                         ; matmul.py:41:21
	s_and_saveexec_b32 s17, s16
	s_cbranch_execz .LBB0_350
.LBB0_398:
	.loc	1 35 23                         ; matmul.py:35:23
	v_bfe_u32 v25, v30, 16, 1
	v_cmp_o_f32_e64 s16, v30, v30
	s_delay_alu instid0(VALU_DEP_2) | instskip(NEXT) | instid1(VALU_DEP_1)
	v_add3_u32 v25, v30, v25, 0x7fff
	v_lshrrev_b32_e32 v25, 16, v25
	s_delay_alu instid0(VALU_DEP_1) | instskip(SKIP_1) | instid1(VALU_DEP_1)
	v_cndmask_b32_e64 v27, 0x7fff, v25, s16
	.loc	1 39 52                         ; matmul.py:39:52
	v_add_co_u32 v25, s16, v33, v71
	v_add_co_ci_u32_e64 v26, null, v34, v72, s16
	.loc	1 41 21                         ; matmul.py:41:21
	global_store_b16 v[25:26], v27, off
	s_or_b32 exec_lo, exec_lo, s17
	.loc	1 40 39                         ; matmul.py:40:39
	s_and_b32 s16, s15, s5
	s_delay_alu instid0(SALU_CYCLE_1)
	.loc	1 41 21                         ; matmul.py:41:21
	s_and_saveexec_b32 s17, s16
	s_cbranch_execz .LBB0_351
.LBB0_399:
	.loc	1 35 23                         ; matmul.py:35:23
	v_bfe_u32 v25, v31, 16, 1
	v_cmp_o_f32_e64 s16, v31, v31
	s_delay_alu instid0(VALU_DEP_2) | instskip(NEXT) | instid1(VALU_DEP_1)
	v_add3_u32 v25, v31, v25, 0x7fff
	v_lshrrev_b32_e32 v25, 16, v25
	s_delay_alu instid0(VALU_DEP_1) | instskip(SKIP_1) | instid1(VALU_DEP_1)
	v_cndmask_b32_e64 v27, 0x7fff, v25, s16
	.loc	1 39 52                         ; matmul.py:39:52
	v_add_co_u32 v25, s16, v33, v61
	v_add_co_ci_u32_e64 v26, null, v34, v62, s16
	.loc	1 41 21                         ; matmul.py:41:21
	global_store_b16 v[25:26], v27, off
	s_or_b32 exec_lo, exec_lo, s17
	.loc	1 40 39                         ; matmul.py:40:39
	s_and_b32 s16, s15, s6
	s_delay_alu instid0(SALU_CYCLE_1)
	.loc	1 41 21                         ; matmul.py:41:21
	s_and_saveexec_b32 s17, s16
	s_cbranch_execz .LBB0_352
.LBB0_400:
	.loc	1 35 23                         ; matmul.py:35:23
	v_bfe_u32 v25, v32, 16, 1
	v_cmp_o_f32_e64 s16, v32, v32
	s_delay_alu instid0(VALU_DEP_2) | instskip(NEXT) | instid1(VALU_DEP_1)
	v_add3_u32 v25, v32, v25, 0x7fff
	v_lshrrev_b32_e32 v25, 16, v25
	s_delay_alu instid0(VALU_DEP_1) | instskip(SKIP_1) | instid1(VALU_DEP_1)
	v_cndmask_b32_e64 v27, 0x7fff, v25, s16
	.loc	1 39 52                         ; matmul.py:39:52
	v_add_co_u32 v25, s16, v33, v73
	v_add_co_ci_u32_e64 v26, null, v34, v74, s16
	.loc	1 41 21                         ; matmul.py:41:21
	global_store_b16 v[25:26], v27, off
	s_or_b32 exec_lo, exec_lo, s17
	.loc	1 40 39                         ; matmul.py:40:39
	s_and_b32 s16, s15, s7
	s_delay_alu instid0(SALU_CYCLE_1)
	.loc	1 41 21                         ; matmul.py:41:21
	s_and_saveexec_b32 s17, s16
	s_cbranch_execz .LBB0_353
.LBB0_401:
	.loc	1 35 23                         ; matmul.py:35:23
	v_bfe_u32 v25, v17, 16, 1
	v_cmp_o_f32_e64 s16, v17, v17
	s_delay_alu instid0(VALU_DEP_2) | instskip(NEXT) | instid1(VALU_DEP_1)
	v_add3_u32 v25, v17, v25, 0x7fff
	v_lshrrev_b32_e32 v25, 16, v25
	s_delay_alu instid0(VALU_DEP_1) | instskip(SKIP_1) | instid1(VALU_DEP_1)
	v_cndmask_b32_e64 v17, 0x7fff, v25, s16
	.loc	1 39 52                         ; matmul.py:39:52
	v_add_co_u32 v25, s16, v33, v63
	v_add_co_ci_u32_e64 v26, null, v34, v64, s16
	.loc	1 41 21                         ; matmul.py:41:21
	global_store_b16 v[25:26], v17, off
	s_or_b32 exec_lo, exec_lo, s17
	.loc	1 40 39                         ; matmul.py:40:39
	s_and_b32 s16, s15, s8
	s_delay_alu instid0(SALU_CYCLE_1)
	.loc	1 41 21                         ; matmul.py:41:21
	s_and_saveexec_b32 s17, s16
	s_cbranch_execz .LBB0_354
.LBB0_402:
	.loc	1 35 23                         ; matmul.py:35:23
	v_bfe_u32 v17, v18, 16, 1
	v_cmp_o_f32_e64 s16, v18, v18
	s_delay_alu instid0(VALU_DEP_2) | instskip(NEXT) | instid1(VALU_DEP_1)
	v_add3_u32 v17, v18, v17, 0x7fff
	v_lshrrev_b32_e32 v17, 16, v17
	s_delay_alu instid0(VALU_DEP_1) | instskip(SKIP_1) | instid1(VALU_DEP_1)
	v_cndmask_b32_e64 v25, 0x7fff, v17, s16
	.loc	1 39 52                         ; matmul.py:39:52
	v_add_co_u32 v17, s16, v33, v75
	v_add_co_ci_u32_e64 v18, null, v34, v76, s16
	.loc	1 41 21                         ; matmul.py:41:21
	global_store_b16 v[17:18], v25, off
	s_or_b32 exec_lo, exec_lo, s17
	.loc	1 40 39                         ; matmul.py:40:39
	s_and_b32 s16, s15, s9
	s_delay_alu instid0(SALU_CYCLE_1)
	.loc	1 41 21                         ; matmul.py:41:21
	s_and_saveexec_b32 s17, s16
	s_cbranch_execz .LBB0_355
.LBB0_403:
	.loc	1 35 23                         ; matmul.py:35:23
	v_bfe_u32 v17, v19, 16, 1
	v_cmp_o_f32_e64 s16, v19, v19
	s_delay_alu instid0(VALU_DEP_2) | instskip(NEXT) | instid1(VALU_DEP_1)
	v_add3_u32 v17, v19, v17, 0x7fff
	v_lshrrev_b32_e32 v17, 16, v17
	s_delay_alu instid0(VALU_DEP_1) | instskip(SKIP_1) | instid1(VALU_DEP_1)
	v_cndmask_b32_e64 v19, 0x7fff, v17, s16
	.loc	1 39 52                         ; matmul.py:39:52
	v_add_co_u32 v17, s16, v33, v49
	v_add_co_ci_u32_e64 v18, null, v34, v50, s16
	.loc	1 41 21                         ; matmul.py:41:21
	global_store_b16 v[17:18], v19, off
	s_or_b32 exec_lo, exec_lo, s17
	.loc	1 40 39                         ; matmul.py:40:39
	s_and_b32 s16, s15, s10
	s_delay_alu instid0(SALU_CYCLE_1)
	.loc	1 41 21                         ; matmul.py:41:21
	s_and_saveexec_b32 s17, s16
	s_cbranch_execz .LBB0_356
.LBB0_404:
	.loc	1 35 23                         ; matmul.py:35:23
	v_bfe_u32 v17, v20, 16, 1
	v_cmp_o_f32_e64 s16, v20, v20
	s_delay_alu instid0(VALU_DEP_2) | instskip(NEXT) | instid1(VALU_DEP_1)
	v_add3_u32 v17, v20, v17, 0x7fff
	v_lshrrev_b32_e32 v17, 16, v17
	s_delay_alu instid0(VALU_DEP_1) | instskip(SKIP_1) | instid1(VALU_DEP_1)
	v_cndmask_b32_e64 v19, 0x7fff, v17, s16
	.loc	1 39 52                         ; matmul.py:39:52
	v_add_co_u32 v17, s16, v33, v77
	v_add_co_ci_u32_e64 v18, null, v34, v78, s16
	.loc	1 41 21                         ; matmul.py:41:21
	global_store_b16 v[17:18], v19, off
	s_or_b32 exec_lo, exec_lo, s17
	.loc	1 40 39                         ; matmul.py:40:39
	s_and_b32 s16, s15, s11
	s_delay_alu instid0(SALU_CYCLE_1)
	.loc	1 41 21                         ; matmul.py:41:21
	s_and_saveexec_b32 s17, s16
	s_cbranch_execz .LBB0_357
.LBB0_405:
	.loc	1 35 23                         ; matmul.py:35:23
	v_bfe_u32 v17, v21, 16, 1
	v_cmp_o_f32_e64 s16, v21, v21
	s_delay_alu instid0(VALU_DEP_2) | instskip(NEXT) | instid1(VALU_DEP_1)
	v_add3_u32 v17, v21, v17, 0x7fff
	v_lshrrev_b32_e32 v17, 16, v17
	s_delay_alu instid0(VALU_DEP_1) | instskip(SKIP_1) | instid1(VALU_DEP_1)
	v_cndmask_b32_e64 v19, 0x7fff, v17, s16
	.loc	1 39 52                         ; matmul.py:39:52
	v_add_co_u32 v17, s16, v33, v51
	v_add_co_ci_u32_e64 v18, null, v34, v52, s16
	.loc	1 41 21                         ; matmul.py:41:21
	global_store_b16 v[17:18], v19, off
	s_or_b32 exec_lo, exec_lo, s17
	.loc	1 40 39                         ; matmul.py:40:39
	s_and_b32 s16, s15, s12
	s_delay_alu instid0(SALU_CYCLE_1)
	.loc	1 41 21                         ; matmul.py:41:21
	s_and_saveexec_b32 s17, s16
	s_cbranch_execz .LBB0_358
.LBB0_406:
	.loc	1 35 23                         ; matmul.py:35:23
	v_bfe_u32 v17, v22, 16, 1
	v_cmp_o_f32_e64 s16, v22, v22
	s_delay_alu instid0(VALU_DEP_2) | instskip(NEXT) | instid1(VALU_DEP_1)
	v_add3_u32 v17, v22, v17, 0x7fff
	v_lshrrev_b32_e32 v17, 16, v17
	s_delay_alu instid0(VALU_DEP_1) | instskip(SKIP_1) | instid1(VALU_DEP_1)
	v_cndmask_b32_e64 v19, 0x7fff, v17, s16
	.loc	1 39 52                         ; matmul.py:39:52
	v_add_co_u32 v17, s16, v33, v79
	v_add_co_ci_u32_e64 v18, null, v34, v80, s16
	.loc	1 41 21                         ; matmul.py:41:21
	global_store_b16 v[17:18], v19, off
	s_or_b32 exec_lo, exec_lo, s17
	.loc	1 40 39                         ; matmul.py:40:39
	s_and_b32 s16, s15, s13
	s_delay_alu instid0(SALU_CYCLE_1)
	.loc	1 41 21                         ; matmul.py:41:21
	s_and_saveexec_b32 s17, s16
	s_cbranch_execz .LBB0_359
.LBB0_407:
	.loc	1 35 23                         ; matmul.py:35:23
	v_bfe_u32 v17, v23, 16, 1
	v_cmp_o_f32_e64 s16, v23, v23
	s_delay_alu instid0(VALU_DEP_2) | instskip(NEXT) | instid1(VALU_DEP_1)
	v_add3_u32 v17, v23, v17, 0x7fff
	v_lshrrev_b32_e32 v17, 16, v17
	s_delay_alu instid0(VALU_DEP_1) | instskip(SKIP_1) | instid1(VALU_DEP_1)
	v_cndmask_b32_e64 v19, 0x7fff, v17, s16
	.loc	1 39 52                         ; matmul.py:39:52
	v_add_co_u32 v17, s16, v33, v53
	v_add_co_ci_u32_e64 v18, null, v34, v54, s16
	.loc	1 41 21                         ; matmul.py:41:21
	global_store_b16 v[17:18], v19, off
	s_or_b32 exec_lo, exec_lo, s17
	.loc	1 40 39                         ; matmul.py:40:39
	s_and_b32 s15, s15, s14
	s_delay_alu instid0(SALU_CYCLE_1)
	.loc	1 41 21                         ; matmul.py:41:21
	s_and_saveexec_b32 s16, s15
	s_cbranch_execnz .LBB0_360
	s_branch .LBB0_361
.LBB0_408:
	.loc	1 35 23                         ; matmul.py:35:23
	v_bfe_u32 v18, v9, 16, 1
	v_cmp_o_f32_e32 vcc_lo, v9, v9
	s_delay_alu instid0(VALU_DEP_2) | instskip(NEXT) | instid1(VALU_DEP_1)
	v_add3_u32 v18, v9, v18, 0x7fff
	v_lshrrev_b32_e32 v18, 16, v18
	s_delay_alu instid0(VALU_DEP_1) | instskip(SKIP_1) | instid1(VALU_DEP_1)
	v_cndmask_b32_e32 v9, 0x7fff, v18, vcc_lo
	.loc	1 39 52                         ; matmul.py:39:52
	v_add_co_u32 v18, vcc_lo, v0, v65
	v_add_co_ci_u32_e64 v19, null, v17, v66, vcc_lo
	.loc	1 41 21                         ; matmul.py:41:21
	global_store_b16 v[18:19], v9, off
	s_or_b32 exec_lo, exec_lo, s16
	.loc	1 40 39                         ; matmul.py:40:39
	s_and_b32 s16, s15, s0
	s_delay_alu instid0(SALU_CYCLE_1)
	.loc	1 41 21                         ; matmul.py:41:21
	s_and_saveexec_b32 s0, s16
	s_cbranch_execz .LBB0_363
.LBB0_409:
	.loc	1 35 23                         ; matmul.py:35:23
	v_bfe_u32 v9, v10, 16, 1
	v_cmp_o_f32_e32 vcc_lo, v10, v10
	s_delay_alu instid0(VALU_DEP_2) | instskip(NEXT) | instid1(VALU_DEP_1)
	v_add3_u32 v9, v10, v9, 0x7fff
	v_lshrrev_b32_e32 v9, 16, v9
	s_delay_alu instid0(VALU_DEP_1) | instskip(SKIP_1) | instid1(VALU_DEP_1)
	v_cndmask_b32_e32 v18, 0x7fff, v9, vcc_lo
	.loc	1 39 52                         ; matmul.py:39:52
	v_add_co_u32 v9, vcc_lo, v0, v67
	v_add_co_ci_u32_e64 v10, null, v17, v68, vcc_lo
	.loc	1 41 21                         ; matmul.py:41:21
	global_store_b16 v[9:10], v18, off
	s_or_b32 exec_lo, exec_lo, s0
	.loc	1 40 39                         ; matmul.py:40:39
	s_and_b32 s1, s15, s1
	s_delay_alu instid0(SALU_CYCLE_1)
	.loc	1 41 21                         ; matmul.py:41:21
	s_and_saveexec_b32 s0, s1
	s_cbranch_execz .LBB0_364
.LBB0_410:
	.loc	1 35 23                         ; matmul.py:35:23
	v_bfe_u32 v9, v11, 16, 1
	v_cmp_o_f32_e32 vcc_lo, v11, v11
	s_delay_alu instid0(VALU_DEP_2) | instskip(NEXT) | instid1(VALU_DEP_1)
	v_add3_u32 v9, v11, v9, 0x7fff
	v_lshrrev_b32_e32 v9, 16, v9
	s_delay_alu instid0(VALU_DEP_1) | instskip(SKIP_1) | instid1(VALU_DEP_1)
	v_cndmask_b32_e32 v11, 0x7fff, v9, vcc_lo
	.loc	1 39 52                         ; matmul.py:39:52
	v_add_co_u32 v9, vcc_lo, v0, v57
	v_add_co_ci_u32_e64 v10, null, v17, v58, vcc_lo
	.loc	1 41 21                         ; matmul.py:41:21
	global_store_b16 v[9:10], v11, off
	s_or_b32 exec_lo, exec_lo, s0
	.loc	1 40 39                         ; matmul.py:40:39
	s_and_b32 s1, s15, s2
	s_delay_alu instid0(SALU_CYCLE_1)
	.loc	1 41 21                         ; matmul.py:41:21
	s_and_saveexec_b32 s0, s1
	s_cbranch_execz .LBB0_365
.LBB0_411:
	.loc	1 35 23                         ; matmul.py:35:23
	v_bfe_u32 v9, v12, 16, 1
	v_cmp_o_f32_e32 vcc_lo, v12, v12
	s_delay_alu instid0(VALU_DEP_2) | instskip(NEXT) | instid1(VALU_DEP_1)
	v_add3_u32 v9, v12, v9, 0x7fff
	v_lshrrev_b32_e32 v9, 16, v9
	s_delay_alu instid0(VALU_DEP_1) | instskip(SKIP_1) | instid1(VALU_DEP_1)
	v_cndmask_b32_e32 v11, 0x7fff, v9, vcc_lo
	.loc	1 39 52                         ; matmul.py:39:52
	v_add_co_u32 v9, vcc_lo, v0, v69
	v_add_co_ci_u32_e64 v10, null, v17, v70, vcc_lo
	.loc	1 41 21                         ; matmul.py:41:21
	global_store_b16 v[9:10], v11, off
	s_or_b32 exec_lo, exec_lo, s0
	.loc	1 40 39                         ; matmul.py:40:39
	s_and_b32 s1, s15, s3
	s_delay_alu instid0(SALU_CYCLE_1)
	.loc	1 41 21                         ; matmul.py:41:21
	s_and_saveexec_b32 s0, s1
	s_cbranch_execz .LBB0_366
.LBB0_412:
	.loc	1 35 23                         ; matmul.py:35:23
	v_bfe_u32 v9, v13, 16, 1
	v_cmp_o_f32_e32 vcc_lo, v13, v13
	s_delay_alu instid0(VALU_DEP_2) | instskip(NEXT) | instid1(VALU_DEP_1)
	v_add3_u32 v9, v13, v9, 0x7fff
	v_lshrrev_b32_e32 v9, 16, v9
	s_delay_alu instid0(VALU_DEP_1) | instskip(SKIP_1) | instid1(VALU_DEP_1)
	v_cndmask_b32_e32 v11, 0x7fff, v9, vcc_lo
	.loc	1 39 52                         ; matmul.py:39:52
	v_add_co_u32 v9, vcc_lo, v0, v59
	v_add_co_ci_u32_e64 v10, null, v17, v60, vcc_lo
	.loc	1 41 21                         ; matmul.py:41:21
	global_store_b16 v[9:10], v11, off
	s_or_b32 exec_lo, exec_lo, s0
	.loc	1 40 39                         ; matmul.py:40:39
	s_and_b32 s1, s15, s4
	s_delay_alu instid0(SALU_CYCLE_1)
	.loc	1 41 21                         ; matmul.py:41:21
	s_and_saveexec_b32 s0, s1
	s_cbranch_execz .LBB0_367
.LBB0_413:
	.loc	1 35 23                         ; matmul.py:35:23
	v_bfe_u32 v9, v14, 16, 1
	v_cmp_o_f32_e32 vcc_lo, v14, v14
	s_delay_alu instid0(VALU_DEP_2) | instskip(NEXT) | instid1(VALU_DEP_1)
	v_add3_u32 v9, v14, v9, 0x7fff
	v_lshrrev_b32_e32 v9, 16, v9
	s_delay_alu instid0(VALU_DEP_1) | instskip(SKIP_1) | instid1(VALU_DEP_1)
	v_cndmask_b32_e32 v11, 0x7fff, v9, vcc_lo
	.loc	1 39 52                         ; matmul.py:39:52
	v_add_co_u32 v9, vcc_lo, v0, v71
	v_add_co_ci_u32_e64 v10, null, v17, v72, vcc_lo
	.loc	1 41 21                         ; matmul.py:41:21
	global_store_b16 v[9:10], v11, off
	s_or_b32 exec_lo, exec_lo, s0
	.loc	1 40 39                         ; matmul.py:40:39
	s_and_b32 s1, s15, s5
	s_delay_alu instid0(SALU_CYCLE_1)
	.loc	1 41 21                         ; matmul.py:41:21
	s_and_saveexec_b32 s0, s1
	s_cbranch_execz .LBB0_368
.LBB0_414:
	.loc	1 35 23                         ; matmul.py:35:23
	v_bfe_u32 v9, v15, 16, 1
	v_cmp_o_f32_e32 vcc_lo, v15, v15
	s_delay_alu instid0(VALU_DEP_2) | instskip(NEXT) | instid1(VALU_DEP_1)
	v_add3_u32 v9, v15, v9, 0x7fff
	v_lshrrev_b32_e32 v9, 16, v9
	s_delay_alu instid0(VALU_DEP_1) | instskip(SKIP_1) | instid1(VALU_DEP_1)
	v_cndmask_b32_e32 v11, 0x7fff, v9, vcc_lo
	.loc	1 39 52                         ; matmul.py:39:52
	v_add_co_u32 v9, vcc_lo, v0, v61
	v_add_co_ci_u32_e64 v10, null, v17, v62, vcc_lo
	.loc	1 41 21                         ; matmul.py:41:21
	global_store_b16 v[9:10], v11, off
	s_or_b32 exec_lo, exec_lo, s0
	.loc	1 40 39                         ; matmul.py:40:39
	s_and_b32 s1, s15, s6
	s_delay_alu instid0(SALU_CYCLE_1)
	.loc	1 41 21                         ; matmul.py:41:21
	s_and_saveexec_b32 s0, s1
	s_cbranch_execz .LBB0_369
.LBB0_415:
	.loc	1 35 23                         ; matmul.py:35:23
	v_bfe_u32 v9, v16, 16, 1
	v_cmp_o_f32_e32 vcc_lo, v16, v16
	s_delay_alu instid0(VALU_DEP_2) | instskip(NEXT) | instid1(VALU_DEP_1)
	v_add3_u32 v9, v16, v9, 0x7fff
	v_lshrrev_b32_e32 v9, 16, v9
	s_delay_alu instid0(VALU_DEP_1) | instskip(SKIP_1) | instid1(VALU_DEP_1)
	v_cndmask_b32_e32 v11, 0x7fff, v9, vcc_lo
	.loc	1 39 52                         ; matmul.py:39:52
	v_add_co_u32 v9, vcc_lo, v0, v73
	v_add_co_ci_u32_e64 v10, null, v17, v74, vcc_lo
	.loc	1 41 21                         ; matmul.py:41:21
	global_store_b16 v[9:10], v11, off
	s_or_b32 exec_lo, exec_lo, s0
	.loc	1 40 39                         ; matmul.py:40:39
	s_and_b32 s1, s15, s7
	s_delay_alu instid0(SALU_CYCLE_1)
	.loc	1 41 21                         ; matmul.py:41:21
	s_and_saveexec_b32 s0, s1
	s_cbranch_execz .LBB0_370
.LBB0_416:
	.loc	1 35 23                         ; matmul.py:35:23
	v_bfe_u32 v9, v1, 16, 1
	v_cmp_o_f32_e32 vcc_lo, v1, v1
	s_delay_alu instid0(VALU_DEP_2) | instskip(NEXT) | instid1(VALU_DEP_1)
	v_add3_u32 v9, v1, v9, 0x7fff
	v_lshrrev_b32_e32 v9, 16, v9
	s_delay_alu instid0(VALU_DEP_1) | instskip(SKIP_1) | instid1(VALU_DEP_1)
	v_cndmask_b32_e32 v1, 0x7fff, v9, vcc_lo
	.loc	1 39 52                         ; matmul.py:39:52
	v_add_co_u32 v9, vcc_lo, v0, v63
	v_add_co_ci_u32_e64 v10, null, v17, v64, vcc_lo
	.loc	1 41 21                         ; matmul.py:41:21
	global_store_b16 v[9:10], v1, off
	s_or_b32 exec_lo, exec_lo, s0
	.loc	1 40 39                         ; matmul.py:40:39
	s_and_b32 s1, s15, s8
	s_delay_alu instid0(SALU_CYCLE_1)
	.loc	1 41 21                         ; matmul.py:41:21
	s_and_saveexec_b32 s0, s1
	s_cbranch_execz .LBB0_371
.LBB0_417:
	.loc	1 35 23                         ; matmul.py:35:23
	v_bfe_u32 v1, v2, 16, 1
	v_cmp_o_f32_e32 vcc_lo, v2, v2
	s_delay_alu instid0(VALU_DEP_2) | instskip(NEXT) | instid1(VALU_DEP_1)
	v_add3_u32 v1, v2, v1, 0x7fff
	v_lshrrev_b32_e32 v1, 16, v1
	s_delay_alu instid0(VALU_DEP_1) | instskip(SKIP_1) | instid1(VALU_DEP_1)
	v_cndmask_b32_e32 v9, 0x7fff, v1, vcc_lo
	.loc	1 39 52                         ; matmul.py:39:52
	v_add_co_u32 v1, vcc_lo, v0, v75
	v_add_co_ci_u32_e64 v2, null, v17, v76, vcc_lo
	.loc	1 41 21                         ; matmul.py:41:21
	global_store_b16 v[1:2], v9, off
	s_or_b32 exec_lo, exec_lo, s0
	.loc	1 40 39                         ; matmul.py:40:39
	s_and_b32 s1, s15, s9
	s_delay_alu instid0(SALU_CYCLE_1)
	.loc	1 41 21                         ; matmul.py:41:21
	s_and_saveexec_b32 s0, s1
	s_cbranch_execz .LBB0_372
.LBB0_418:
	.loc	1 35 23                         ; matmul.py:35:23
	v_bfe_u32 v1, v3, 16, 1
	v_cmp_o_f32_e32 vcc_lo, v3, v3
	s_delay_alu instid0(VALU_DEP_2) | instskip(NEXT) | instid1(VALU_DEP_1)
	v_add3_u32 v1, v3, v1, 0x7fff
	v_lshrrev_b32_e32 v1, 16, v1
	s_delay_alu instid0(VALU_DEP_1) | instskip(SKIP_1) | instid1(VALU_DEP_1)
	v_cndmask_b32_e32 v3, 0x7fff, v1, vcc_lo
	.loc	1 39 52                         ; matmul.py:39:52
	v_add_co_u32 v1, vcc_lo, v0, v49
	v_add_co_ci_u32_e64 v2, null, v17, v50, vcc_lo
	.loc	1 41 21                         ; matmul.py:41:21
	global_store_b16 v[1:2], v3, off
	s_or_b32 exec_lo, exec_lo, s0
	.loc	1 40 39                         ; matmul.py:40:39
	s_and_b32 s1, s15, s10
	s_delay_alu instid0(SALU_CYCLE_1)
	.loc	1 41 21                         ; matmul.py:41:21
	s_and_saveexec_b32 s0, s1
	s_cbranch_execz .LBB0_373
.LBB0_419:
	.loc	1 35 23                         ; matmul.py:35:23
	v_bfe_u32 v1, v4, 16, 1
	v_cmp_o_f32_e32 vcc_lo, v4, v4
	s_delay_alu instid0(VALU_DEP_2) | instskip(NEXT) | instid1(VALU_DEP_1)
	v_add3_u32 v1, v4, v1, 0x7fff
	v_lshrrev_b32_e32 v1, 16, v1
	s_delay_alu instid0(VALU_DEP_1) | instskip(SKIP_1) | instid1(VALU_DEP_1)
	v_cndmask_b32_e32 v3, 0x7fff, v1, vcc_lo
	.loc	1 39 52                         ; matmul.py:39:52
	v_add_co_u32 v1, vcc_lo, v0, v77
	v_add_co_ci_u32_e64 v2, null, v17, v78, vcc_lo
	.loc	1 41 21                         ; matmul.py:41:21
	global_store_b16 v[1:2], v3, off
	s_or_b32 exec_lo, exec_lo, s0
	.loc	1 40 39                         ; matmul.py:40:39
	s_and_b32 s1, s15, s11
	s_delay_alu instid0(SALU_CYCLE_1)
	.loc	1 41 21                         ; matmul.py:41:21
	s_and_saveexec_b32 s0, s1
	s_cbranch_execz .LBB0_374
.LBB0_420:
	.loc	1 35 23                         ; matmul.py:35:23
	v_bfe_u32 v1, v5, 16, 1
	v_cmp_o_f32_e32 vcc_lo, v5, v5
	s_delay_alu instid0(VALU_DEP_2) | instskip(NEXT) | instid1(VALU_DEP_1)
	v_add3_u32 v1, v5, v1, 0x7fff
	v_lshrrev_b32_e32 v1, 16, v1
	s_delay_alu instid0(VALU_DEP_1) | instskip(SKIP_1) | instid1(VALU_DEP_1)
	v_cndmask_b32_e32 v3, 0x7fff, v1, vcc_lo
	.loc	1 39 52                         ; matmul.py:39:52
	v_add_co_u32 v1, vcc_lo, v0, v51
	v_add_co_ci_u32_e64 v2, null, v17, v52, vcc_lo
	.loc	1 41 21                         ; matmul.py:41:21
	global_store_b16 v[1:2], v3, off
	s_or_b32 exec_lo, exec_lo, s0
	.loc	1 40 39                         ; matmul.py:40:39
	s_and_b32 s1, s15, s12
	s_delay_alu instid0(SALU_CYCLE_1)
	.loc	1 41 21                         ; matmul.py:41:21
	s_and_saveexec_b32 s0, s1
	s_cbranch_execz .LBB0_375
.LBB0_421:
	.loc	1 35 23                         ; matmul.py:35:23
	v_bfe_u32 v1, v6, 16, 1
	v_cmp_o_f32_e32 vcc_lo, v6, v6
	s_delay_alu instid0(VALU_DEP_2) | instskip(NEXT) | instid1(VALU_DEP_1)
	v_add3_u32 v1, v6, v1, 0x7fff
	v_lshrrev_b32_e32 v1, 16, v1
	s_delay_alu instid0(VALU_DEP_1) | instskip(SKIP_1) | instid1(VALU_DEP_1)
	v_cndmask_b32_e32 v3, 0x7fff, v1, vcc_lo
	.loc	1 39 52                         ; matmul.py:39:52
	v_add_co_u32 v1, vcc_lo, v0, v79
	v_add_co_ci_u32_e64 v2, null, v17, v80, vcc_lo
	.loc	1 41 21                         ; matmul.py:41:21
	global_store_b16 v[1:2], v3, off
	s_or_b32 exec_lo, exec_lo, s0
	.loc	1 40 39                         ; matmul.py:40:39
	s_and_b32 s1, s15, s13
	s_delay_alu instid0(SALU_CYCLE_1)
	.loc	1 41 21                         ; matmul.py:41:21
	s_and_saveexec_b32 s0, s1
	s_cbranch_execz .LBB0_376
.LBB0_422:
	.loc	1 35 23                         ; matmul.py:35:23
	v_bfe_u32 v1, v7, 16, 1
	v_cmp_o_f32_e32 vcc_lo, v7, v7
	s_delay_alu instid0(VALU_DEP_2) | instskip(NEXT) | instid1(VALU_DEP_1)
	v_add3_u32 v1, v7, v1, 0x7fff
	v_lshrrev_b32_e32 v1, 16, v1
	s_delay_alu instid0(VALU_DEP_1) | instskip(SKIP_1) | instid1(VALU_DEP_1)
	v_cndmask_b32_e32 v3, 0x7fff, v1, vcc_lo
	.loc	1 39 52                         ; matmul.py:39:52
	v_add_co_u32 v1, vcc_lo, v0, v53
	v_add_co_ci_u32_e64 v2, null, v17, v54, vcc_lo
	.loc	1 41 21                         ; matmul.py:41:21
	global_store_b16 v[1:2], v3, off
	s_or_b32 exec_lo, exec_lo, s0
	.loc	1 40 39                         ; matmul.py:40:39
	s_and_b32 s0, s15, s14
	s_delay_alu instid0(SALU_CYCLE_1)
	.loc	1 41 21                         ; matmul.py:41:21
	s_and_saveexec_b32 s1, s0
	s_cbranch_execz .LBB0_377
.LBB0_423:
	.loc	1 35 23                         ; matmul.py:35:23
	v_bfe_u32 v1, v8, 16, 1
	v_cmp_o_f32_e32 vcc_lo, v8, v8
	s_delay_alu instid0(VALU_DEP_2) | instskip(NEXT) | instid1(VALU_DEP_1)
	v_add3_u32 v1, v8, v1, 0x7fff
	v_lshrrev_b32_e32 v1, 16, v1
	s_delay_alu instid0(VALU_DEP_1) | instskip(SKIP_1) | instid1(VALU_DEP_1)
	v_cndmask_b32_e32 v2, 0x7fff, v1, vcc_lo
	.loc	1 39 52                         ; matmul.py:39:52
	v_add_co_u32 v0, vcc_lo, v0, v81
	v_add_co_ci_u32_e64 v1, null, v17, v82, vcc_lo
	.loc	1 41 21                         ; matmul.py:41:21
	global_store_b16 v[0:1], v2, off
	.loc	1 41 4 is_stmt 0                ; matmul.py:41:4
	s_nop 0
	s_sendmsg sendmsg(MSG_DEALLOC_VGPRS)
	s_endpgm
.Ltmp20:
	.section	.rodata,"a",@progbits
	.p2align	6, 0x0
	.amdhsa_kernel matmul_kernel
		.amdhsa_group_segment_fixed_size 0
		.amdhsa_private_segment_fixed_size 252
		.amdhsa_kernarg_size 80
		.amdhsa_user_sgpr_count 15
		.amdhsa_user_sgpr_dispatch_ptr 0
		.amdhsa_user_sgpr_queue_ptr 0
		.amdhsa_user_sgpr_kernarg_segment_ptr 1
		.amdhsa_user_sgpr_dispatch_id 0
		.amdhsa_user_sgpr_private_segment_size 0
		.amdhsa_wavefront_size32 1
		.amdhsa_uses_dynamic_stack 0
		.amdhsa_enable_private_segment 1
		.amdhsa_system_sgpr_workgroup_id_x 1
		.amdhsa_system_sgpr_workgroup_id_y 0
		.amdhsa_system_sgpr_workgroup_id_z 0
		.amdhsa_system_sgpr_workgroup_info 0
		.amdhsa_system_vgpr_workitem_id 0
		.amdhsa_next_free_vgpr 256
		.amdhsa_next_free_sgpr 26
		.amdhsa_reserve_vcc 1
		.amdhsa_float_round_mode_32 0
		.amdhsa_float_round_mode_16_64 0
		.amdhsa_float_denorm_mode_32 3
		.amdhsa_float_denorm_mode_16_64 3
		.amdhsa_dx10_clamp 1
		.amdhsa_ieee_mode 1
		.amdhsa_fp16_overflow 0
		.amdhsa_workgroup_processor_mode 1
		.amdhsa_memory_ordered 1
		.amdhsa_forward_progress 1
		.amdhsa_shared_vgpr_count 0
		.amdhsa_inst_pref_size 63
		.amdhsa_exception_fp_ieee_invalid_op 0
		.amdhsa_exception_fp_denorm_src 0
		.amdhsa_exception_fp_ieee_div_zero 0
		.amdhsa_exception_fp_ieee_overflow 0
		.amdhsa_exception_fp_ieee_underflow 0
		.amdhsa_exception_fp_ieee_inexact 0
		.amdhsa_exception_int_div_zero 0
	.end_amdhsa_kernel
	.text
.Lfunc_end0:
	.size	matmul_kernel, .Lfunc_end0-matmul_kernel
	.cfi_endproc
                                        ; -- End function
	.set matmul_kernel.num_vgpr, 256
	.set matmul_kernel.num_agpr, 0
	.set matmul_kernel.numbered_sgpr, 26
	.set matmul_kernel.num_named_barrier, 0
	.set matmul_kernel.private_seg_size, 252
	.set matmul_kernel.uses_vcc, 1
	.set matmul_kernel.uses_flat_scratch, 0
	.set matmul_kernel.has_dyn_sized_stack, 0
	.set matmul_kernel.has_recursion, 0
	.set matmul_kernel.has_indirect_call, 0
	.section	.AMDGPU.csdata,"",@progbits
; Kernel info:
; codeLenInByte = 24560
; TotalNumSgprs: 28
; NumVgprs: 256
; ScratchSize: 252
; MemoryBound: 0
; FloatMode: 240
; IeeeMode: 1
; LDSByteSize: 0 bytes/workgroup (compile time only)
; SGPRBlocks: 0
; VGPRBlocks: 31
; NumSGPRsForWavesPerEU: 28
; NumVGPRsForWavesPerEU: 256
; Occupancy: 5
; WaveLimiterHint : 0
; COMPUTE_PGM_RSRC2:SCRATCH_EN: 1
; COMPUTE_PGM_RSRC2:USER_SGPR: 15
; COMPUTE_PGM_RSRC2:TRAP_HANDLER: 0
; COMPUTE_PGM_RSRC2:TGID_X_EN: 1
; COMPUTE_PGM_RSRC2:TGID_Y_EN: 0
; COMPUTE_PGM_RSRC2:TGID_Z_EN: 0
; COMPUTE_PGM_RSRC2:TIDIG_COMP_CNT: 0
	.text
	.p2alignl 7, 3214868480
	.fill 96, 4, 3214868480
	.section	.AMDGPU.gpr_maximums,"",@progbits
	.set amdgpu.max_num_vgpr, 0
	.set amdgpu.max_num_agpr, 0
	.set amdgpu.max_num_sgpr, 0
	.set amdgpu.max_num_named_barrier, 0
	.text
	.section	.debug_abbrev,"",@progbits
	.byte	1                               ; Abbreviation Code
	.byte	17                              ; DW_TAG_compile_unit
	.byte	1                               ; DW_CHILDREN_yes
	.byte	37                              ; DW_AT_producer
	.byte	14                              ; DW_FORM_strp
	.byte	19                              ; DW_AT_language
	.byte	5                               ; DW_FORM_data2
	.byte	3                               ; DW_AT_name
	.byte	14                              ; DW_FORM_strp
	.byte	16                              ; DW_AT_stmt_list
	.byte	23                              ; DW_FORM_sec_offset
	.byte	27                              ; DW_AT_comp_dir
	.byte	14                              ; DW_FORM_strp
	.byte	17                              ; DW_AT_low_pc
	.byte	1                               ; DW_FORM_addr
	.byte	18                              ; DW_AT_high_pc
	.byte	6                               ; DW_FORM_data4
	.byte	0                               ; EOM(1)
	.byte	0                               ; EOM(2)
	.byte	2                               ; Abbreviation Code
	.byte	46                              ; DW_TAG_subprogram
	.byte	0                               ; DW_CHILDREN_no
	.byte	3                               ; DW_AT_name
	.byte	14                              ; DW_FORM_strp
	.byte	32                              ; DW_AT_inline
	.byte	11                              ; DW_FORM_data1
	.byte	0                               ; EOM(1)
	.byte	0                               ; EOM(2)
	.byte	3                               ; Abbreviation Code
	.byte	46                              ; DW_TAG_subprogram
	.byte	1                               ; DW_CHILDREN_yes
	.byte	17                              ; DW_AT_low_pc
	.byte	1                               ; DW_FORM_addr
	.byte	18                              ; DW_AT_high_pc
	.byte	6                               ; DW_FORM_data4
	.byte	49                              ; DW_AT_abstract_origin
	.byte	19                              ; DW_FORM_ref4
	.byte	0                               ; EOM(1)
	.byte	0                               ; EOM(2)
	.byte	4                               ; Abbreviation Code
	.byte	29                              ; DW_TAG_inlined_subroutine
	.byte	0                               ; DW_CHILDREN_no
	.byte	49                              ; DW_AT_abstract_origin
	.byte	19                              ; DW_FORM_ref4
	.byte	85                              ; DW_AT_ranges
	.byte	23                              ; DW_FORM_sec_offset
	.byte	88                              ; DW_AT_call_file
	.byte	11                              ; DW_FORM_data1
	.byte	89                              ; DW_AT_call_line
	.byte	11                              ; DW_FORM_data1
	.byte	87                              ; DW_AT_call_column
	.byte	11                              ; DW_FORM_data1
	.byte	0                               ; EOM(1)
	.byte	0                               ; EOM(2)
	;; [unrolled: 1-line block ×3, first 2 shown]
	.section	.debug_info,"",@progbits
.Lcu_begin0:
	.long	.Ldebug_info_end0-.Ldebug_info_start0 ; Length of Unit
.Ldebug_info_start0:
	.short	4                               ; DWARF version number
	.long	.debug_abbrev                   ; Offset Into Abbrev. Section
	.byte	8                               ; Address Size (in bytes)
	.byte	1                               ; Abbrev [1] 0xb:0x5c DW_TAG_compile_unit
	.long	.Linfo_string0                  ; DW_AT_producer
	.short	2                               ; DW_AT_language
	.long	.Linfo_string1                  ; DW_AT_name
	.long	.Lline_table_start0             ; DW_AT_stmt_list
	.long	.Linfo_string2                  ; DW_AT_comp_dir
	.quad	.Lfunc_begin0                   ; DW_AT_low_pc
	.long	.Lfunc_end0-.Lfunc_begin0       ; DW_AT_high_pc
	.byte	2                               ; Abbrev [2] 0x2a:0x6 DW_TAG_subprogram
	.long	.Linfo_string3                  ; DW_AT_name
	.byte	1                               ; DW_AT_inline
	.byte	3                               ; Abbrev [3] 0x30:0x36 DW_TAG_subprogram
	.quad	.Lfunc_begin0                   ; DW_AT_low_pc
	.long	.Lfunc_end0-.Lfunc_begin0       ; DW_AT_high_pc
	.long	42                              ; DW_AT_abstract_origin
	.byte	4                               ; Abbrev [4] 0x41:0xc DW_TAG_inlined_subroutine
	.long	42                              ; DW_AT_abstract_origin
	.long	.Ldebug_ranges0                 ; DW_AT_ranges
	.byte	1                               ; DW_AT_call_file
	.byte	14                              ; DW_AT_call_line
	.byte	27                              ; DW_AT_call_column
	.byte	4                               ; Abbrev [4] 0x4d:0xc DW_TAG_inlined_subroutine
	.long	42                              ; DW_AT_abstract_origin
	.long	.Ldebug_ranges1                 ; DW_AT_ranges
	.byte	1                               ; DW_AT_call_file
	.byte	29                              ; DW_AT_call_line
	.byte	33                              ; DW_AT_call_column
	;; [unrolled: 6-line block ×3, first 2 shown]
	.byte	0                               ; End Of Children Mark
	.byte	0                               ; End Of Children Mark
.Ldebug_info_end0:
	.section	.debug_ranges,"",@progbits
.Ldebug_ranges0:
	.quad	.Ltmp0-.Lfunc_begin0
	.quad	.Ltmp1-.Lfunc_begin0
	;; [unrolled: 1-line block ×4, first 2 shown]
	.quad	0
	.quad	0
.Ldebug_ranges1:
	.quad	.Ltmp1-.Lfunc_begin0
	.quad	.Ltmp2-.Lfunc_begin0
	;; [unrolled: 1-line block ×10, first 2 shown]
	.quad	0
	.quad	0
.Ldebug_ranges2:
	.quad	.Ltmp4-.Lfunc_begin0
	.quad	.Ltmp5-.Lfunc_begin0
	;; [unrolled: 1-line block ×8, first 2 shown]
	.quad	0
	.quad	0
	.section	.debug_str,"MS",@progbits,1
.Linfo_string0:
	.asciz	"triton"                        ; string offset=0
.Linfo_string1:
	.asciz	"matmul.py"                     ; string offset=7
.Linfo_string2:
	.asciz	"/root/src/amdgpu-assembly/repos/triton-lang__triton-aot" ; string offset=17
.Linfo_string3:
	.asciz	"matmul_kernel"                 ; string offset=73
	.section	".note.GNU-stack","",@progbits
	.amdgpu_metadata
---
amdhsa.kernels:
  - .args:
      - .address_space:  global
        .offset:         0
        .size:           8
        .value_kind:     global_buffer
      - .address_space:  global
        .offset:         8
        .size:           8
        .value_kind:     global_buffer
      - .address_space:  global
        .offset:         16
        .size:           8
        .value_kind:     global_buffer
      - .offset:         24
        .size:           4
        .value_kind:     by_value
      - .offset:         28
        .size:           4
        .value_kind:     by_value
      - .offset:         32
        .size:           4
        .value_kind:     by_value
      - .offset:         36
        .size:           4
        .value_kind:     by_value
      - .offset:         40
        .size:           4
        .value_kind:     by_value
      - .offset:         44
        .size:           4
        .value_kind:     by_value
      - .offset:         48
        .size:           4
        .value_kind:     by_value
      - .offset:         52
        .size:           4
        .value_kind:     by_value
      - .offset:         56
        .size:           4
        .value_kind:     by_value
      - .address_space:  global
        .offset:         64
        .size:           8
        .value_kind:     global_buffer
      - .address_space:  global
        .offset:         72
        .size:           8
        .value_kind:     global_buffer
    .group_segment_fixed_size: 0
    .kernarg_segment_align: 8
    .kernarg_segment_size: 80
    .max_flat_workgroup_size: 128
    .name:           matmul_kernel
    .private_segment_fixed_size: 252
    .sgpr_count:     28
    .sgpr_spill_count: 0
    .symbol:         matmul_kernel.kd
    .uniform_work_group_size: 1
    .uses_dynamic_stack: false
    .vgpr_count:     256
    .vgpr_spill_count: 62
    .wavefront_size: 32
    .workgroup_processor_mode: 1
amdhsa.target:   amdgcn-amd-amdhsa--gfx1100
amdhsa.version:
  - 1
  - 2
...

	.end_amdgpu_metadata
	.section	.debug_line,"",@progbits
.Lline_table_start0:
